;; amdgpu-corpus repo=ROCm/rocFFT kind=compiled arch=gfx1030 opt=O3
	.text
	.amdgcn_target "amdgcn-amd-amdhsa--gfx1030"
	.amdhsa_code_object_version 6
	.protected	bluestein_single_back_len374_dim1_half_op_CI_CI ; -- Begin function bluestein_single_back_len374_dim1_half_op_CI_CI
	.globl	bluestein_single_back_len374_dim1_half_op_CI_CI
	.p2align	8
	.type	bluestein_single_back_len374_dim1_half_op_CI_CI,@function
bluestein_single_back_len374_dim1_half_op_CI_CI: ; @bluestein_single_back_len374_dim1_half_op_CI_CI
; %bb.0:
	s_load_dwordx4 s[0:3], s[4:5], 0x28
	v_mul_u32_u24_e32 v1, 0x788, v0
	v_lshrrev_b32_e32 v1, 16, v1
	v_mad_u64_u32 v[8:9], null, s6, 7, v[1:2]
	v_mov_b32_e32 v9, 0
                                        ; kill: def $vgpr2 killed $sgpr0 killed $exec
	s_waitcnt lgkmcnt(0)
	v_cmp_gt_u64_e32 vcc_lo, s[0:1], v[8:9]
	s_and_saveexec_b32 s0, vcc_lo
	s_cbranch_execz .LBB0_23
; %bb.1:
	v_mul_hi_u32 v2, 0x24924925, v8
	v_mul_lo_u16 v1, v1, 34
	s_clause 0x1
	s_load_dwordx2 s[12:13], s[4:5], 0x0
	s_load_dwordx2 s[14:15], s[4:5], 0x38
	v_sub_nc_u16 v0, v0, v1
	v_sub_nc_u32_e32 v3, v8, v2
	v_and_b32_e32 v29, 0xffff, v0
	v_cmp_gt_u16_e32 vcc_lo, 22, v0
	v_lshrrev_b32_e32 v3, 1, v3
	v_lshlrev_b32_e32 v28, 2, v29
	v_or_b32_e32 v27, 0x160, v29
	v_add_nc_u32_e32 v2, v3, v2
	v_lshrrev_b32_e32 v2, 2, v2
	v_mul_lo_u32 v2, v2, 7
	v_sub_nc_u32_e32 v1, v8, v2
	v_mul_u32_u24_e32 v23, 0x176, v1
	v_lshlrev_b32_e32 v30, 2, v23
	s_and_saveexec_b32 s1, vcc_lo
	s_cbranch_execz .LBB0_3
; %bb.2:
	s_load_dwordx2 s[6:7], s[4:5], 0x18
	v_lshl_add_u32 v41, v29, 2, v30
	v_add_nc_u32_e32 v40, v30, v28
	v_add_nc_u32_e32 v42, 0x200, v40
	;; [unrolled: 1-line block ×3, first 2 shown]
	s_waitcnt lgkmcnt(0)
	s_load_dwordx4 s[8:11], s[6:7], 0x0
	s_waitcnt lgkmcnt(0)
	v_mad_u64_u32 v[0:1], null, s10, v8, 0
	v_mad_u64_u32 v[2:3], null, s8, v29, 0
	;; [unrolled: 1-line block ×3, first 2 shown]
	s_mul_i32 s0, s9, 0x58
	s_mul_hi_u32 s6, s8, 0x58
	s_mul_i32 s7, s8, 0x58
	s_add_i32 s6, s6, s0
	v_mad_u64_u32 v[6:7], null, s11, v8, v[1:2]
	v_mov_b32_e32 v1, v5
	v_mad_u64_u32 v[9:10], null, s9, v29, v[3:4]
	s_clause 0x1
	global_load_dword v7, v28, s[12:13]
	global_load_dword v12, v28, s[12:13] offset:88
	v_mad_u64_u32 v[10:11], null, s9, v27, v[1:2]
	v_mov_b32_e32 v1, v6
	global_load_dword v6, v28, s[12:13] offset:1408
	v_mov_b32_e32 v3, v9
	v_lshlrev_b64 v[0:1], 2, v[0:1]
	v_mov_b32_e32 v5, v10
	v_lshlrev_b64 v[2:3], 2, v[2:3]
	v_add_co_u32 v9, s0, s2, v0
	v_add_co_ci_u32_e64 v10, s0, s3, v1, s0
	v_lshlrev_b64 v[0:1], 2, v[4:5]
	v_add_co_u32 v2, s0, v9, v2
	v_add_co_ci_u32_e64 v3, s0, v10, v3, s0
	v_add_co_u32 v0, s0, v9, v0
	v_add_co_ci_u32_e64 v1, s0, v10, v1, s0
	s_clause 0x1
	global_load_dword v4, v[2:3], off
	global_load_dword v5, v[0:1], off
	v_add_co_u32 v2, s0, v2, s7
	v_add_co_ci_u32_e64 v3, s0, s6, v3, s0
	v_add_co_u32 v0, s0, v2, s7
	v_add_co_ci_u32_e64 v1, s0, s6, v3, s0
	global_load_dword v9, v[2:3], off
	v_add_co_u32 v2, s0, v0, s7
	v_add_co_ci_u32_e64 v3, s0, s6, v1, s0
	global_load_dword v10, v[0:1], off
	global_load_dword v11, v28, s[12:13] offset:176
	global_load_dword v13, v[2:3], off
	v_add_co_u32 v0, s0, v2, s7
	v_add_co_ci_u32_e64 v1, s0, s6, v3, s0
	s_clause 0x1
	global_load_dword v14, v28, s[12:13] offset:264
	global_load_dword v15, v28, s[12:13] offset:352
	v_add_co_u32 v2, s0, v0, s7
	v_add_co_ci_u32_e64 v3, s0, s6, v1, s0
	global_load_dword v16, v[0:1], off
	v_add_co_u32 v0, s0, v2, s7
	v_add_co_ci_u32_e64 v1, s0, s6, v3, s0
	global_load_dword v17, v[2:3], off
	s_clause 0x2
	global_load_dword v18, v28, s[12:13] offset:440
	global_load_dword v19, v28, s[12:13] offset:528
	;; [unrolled: 1-line block ×3, first 2 shown]
	global_load_dword v21, v[0:1], off
	v_add_co_u32 v0, s0, v0, s7
	v_add_co_ci_u32_e64 v1, s0, s6, v1, s0
	global_load_dword v22, v28, s[12:13] offset:704
	v_add_co_u32 v2, s0, v0, s7
	v_add_co_ci_u32_e64 v3, s0, s6, v1, s0
	global_load_dword v24, v[0:1], off
	v_add_co_u32 v0, s0, v2, s7
	v_add_co_ci_u32_e64 v1, s0, s6, v3, s0
	global_load_dword v25, v[2:3], off
	v_add_co_u32 v2, s0, v0, s7
	v_add_co_ci_u32_e64 v3, s0, s6, v1, s0
	global_load_dword v26, v28, s[12:13] offset:792
	global_load_dword v31, v[0:1], off
	global_load_dword v32, v[2:3], off
	v_add_co_u32 v0, s0, v2, s7
	v_add_co_ci_u32_e64 v1, s0, s6, v3, s0
	s_clause 0x2
	global_load_dword v33, v28, s[12:13] offset:880
	global_load_dword v34, v28, s[12:13] offset:968
	;; [unrolled: 1-line block ×3, first 2 shown]
	v_add_co_u32 v2, s0, v0, s7
	v_add_co_ci_u32_e64 v3, s0, s6, v1, s0
	global_load_dword v36, v[0:1], off
	v_add_co_u32 v0, s0, v2, s7
	v_add_co_ci_u32_e64 v1, s0, s6, v3, s0
	global_load_dword v37, v[2:3], off
	;; [unrolled: 3-line block ×3, first 2 shown]
	v_add_co_u32 v0, s0, v2, s7
	v_add_co_ci_u32_e64 v1, s0, s6, v3, s0
	global_load_dword v39, v28, s[12:13] offset:1144
	global_load_dword v2, v[2:3], off
	global_load_dword v0, v[0:1], off
	s_clause 0x1
	global_load_dword v1, v28, s[12:13] offset:1232
	global_load_dword v3, v28, s[12:13] offset:1320
	s_waitcnt vmcnt(30)
	v_lshrrev_b32_e32 v43, 16, v4
	v_mul_f16_sdwa v44, v7, v4 dst_sel:DWORD dst_unused:UNUSED_PAD src0_sel:WORD_1 src1_sel:DWORD
	s_waitcnt vmcnt(29)
	v_lshrrev_b32_e32 v46, 16, v5
	v_mul_f16_sdwa v47, v6, v5 dst_sel:DWORD dst_unused:UNUSED_PAD src0_sel:WORD_1 src1_sel:DWORD
	v_mul_f16_sdwa v48, v7, v43 dst_sel:DWORD dst_unused:UNUSED_PAD src0_sel:WORD_1 src1_sel:DWORD
	v_fma_f16 v43, v7, v43, -v44
	v_mul_f16_sdwa v50, v6, v46 dst_sel:DWORD dst_unused:UNUSED_PAD src0_sel:WORD_1 src1_sel:DWORD
	v_fma_f16 v46, v6, v46, -v47
	v_fmac_f16_e32 v48, v7, v4
	s_waitcnt vmcnt(28)
	v_lshrrev_b32_e32 v44, 16, v9
	v_mul_f16_sdwa v49, v12, v9 dst_sel:DWORD dst_unused:UNUSED_PAD src0_sel:WORD_1 src1_sel:DWORD
	v_fmac_f16_e32 v50, v6, v5
	v_pack_b32_f16 v5, v48, v43
	v_mul_f16_sdwa v4, v12, v44 dst_sel:DWORD dst_unused:UNUSED_PAD src0_sel:WORD_1 src1_sel:DWORD
	v_fma_f16 v7, v12, v44, -v49
	s_waitcnt vmcnt(27)
	v_lshrrev_b32_e32 v44, 16, v10
	s_waitcnt vmcnt(26)
	v_mul_f16_sdwa v47, v11, v10 dst_sel:DWORD dst_unused:UNUSED_PAD src0_sel:WORD_1 src1_sel:DWORD
	ds_write_b32 v41, v5
	v_fmac_f16_e32 v4, v12, v9
	s_waitcnt vmcnt(25)
	v_lshrrev_b32_e32 v12, 16, v13
	v_mul_f16_sdwa v6, v11, v44 dst_sel:DWORD dst_unused:UNUSED_PAD src0_sel:WORD_1 src1_sel:DWORD
	v_fma_f16 v9, v11, v44, -v47
	s_waitcnt vmcnt(24)
	v_mul_f16_sdwa v43, v14, v13 dst_sel:DWORD dst_unused:UNUSED_PAD src0_sel:WORD_1 src1_sel:DWORD
	v_pack_b32_f16 v4, v4, v7
	v_mul_f16_sdwa v5, v14, v12 dst_sel:DWORD dst_unused:UNUSED_PAD src0_sel:WORD_1 src1_sel:DWORD
	v_fmac_f16_e32 v6, v11, v10
	s_waitcnt vmcnt(22)
	v_lshrrev_b32_e32 v7, 16, v16
	v_mul_f16_sdwa v10, v15, v16 dst_sel:DWORD dst_unused:UNUSED_PAD src0_sel:WORD_1 src1_sel:DWORD
	v_fma_f16 v11, v14, v12, -v43
	v_fmac_f16_e32 v5, v14, v13
	v_pack_b32_f16 v6, v6, v9
	v_mul_f16_sdwa v9, v15, v7 dst_sel:DWORD dst_unused:UNUSED_PAD src0_sel:WORD_1 src1_sel:DWORD
	v_fma_f16 v7, v15, v7, -v10
	s_waitcnt vmcnt(21)
	v_lshrrev_b32_e32 v10, 16, v17
	s_waitcnt vmcnt(20)
	v_mul_f16_sdwa v12, v18, v17 dst_sel:DWORD dst_unused:UNUSED_PAD src0_sel:WORD_1 src1_sel:DWORD
	ds_write2_b32 v40, v4, v6 offset0:22 offset1:44
	v_pack_b32_f16 v4, v5, v11
	v_fmac_f16_e32 v9, v15, v16
	v_mul_f16_sdwa v5, v18, v10 dst_sel:DWORD dst_unused:UNUSED_PAD src0_sel:WORD_1 src1_sel:DWORD
	s_waitcnt vmcnt(17)
	v_lshrrev_b32_e32 v6, 16, v21
	v_mul_f16_sdwa v11, v19, v21 dst_sel:DWORD dst_unused:UNUSED_PAD src0_sel:WORD_1 src1_sel:DWORD
	v_fma_f16 v10, v18, v10, -v12
	v_pack_b32_f16 v7, v9, v7
	v_fmac_f16_e32 v5, v18, v17
	v_mul_f16_sdwa v9, v19, v6 dst_sel:DWORD dst_unused:UNUSED_PAD src0_sel:WORD_1 src1_sel:DWORD
	v_fma_f16 v6, v19, v6, -v11
	s_waitcnt vmcnt(15)
	v_lshrrev_b32_e32 v11, 16, v24
	v_mul_f16_sdwa v12, v20, v24 dst_sel:DWORD dst_unused:UNUSED_PAD src0_sel:WORD_1 src1_sel:DWORD
	ds_write2_b32 v40, v4, v7 offset0:66 offset1:88
	v_pack_b32_f16 v4, v5, v10
	v_fmac_f16_e32 v9, v19, v21
	v_mul_f16_sdwa v5, v20, v11 dst_sel:DWORD dst_unused:UNUSED_PAD src0_sel:WORD_1 src1_sel:DWORD
	s_waitcnt vmcnt(14)
	v_lshrrev_b32_e32 v7, 16, v25
	v_mul_f16_sdwa v10, v22, v25 dst_sel:DWORD dst_unused:UNUSED_PAD src0_sel:WORD_1 src1_sel:DWORD
	v_fma_f16 v11, v20, v11, -v12
	v_pack_b32_f16 v6, v9, v6
	v_fmac_f16_e32 v5, v20, v24
	v_mul_f16_sdwa v9, v22, v7 dst_sel:DWORD dst_unused:UNUSED_PAD src0_sel:WORD_1 src1_sel:DWORD
	v_fma_f16 v7, v22, v7, -v10
	s_waitcnt vmcnt(12)
	v_lshrrev_b32_e32 v10, 16, v31
	v_mul_f16_sdwa v12, v26, v31 dst_sel:DWORD dst_unused:UNUSED_PAD src0_sel:WORD_1 src1_sel:DWORD
	ds_write2_b32 v40, v4, v6 offset0:110 offset1:132
	v_pack_b32_f16 v4, v5, v11
	v_fmac_f16_e32 v9, v22, v25
	v_mul_f16_sdwa v5, v26, v10 dst_sel:DWORD dst_unused:UNUSED_PAD src0_sel:WORD_1 src1_sel:DWORD
	s_waitcnt vmcnt(11)
	v_lshrrev_b32_e32 v6, 16, v32
	s_waitcnt vmcnt(10)
	v_mul_f16_sdwa v11, v33, v32 dst_sel:DWORD dst_unused:UNUSED_PAD src0_sel:WORD_1 src1_sel:DWORD
	v_fma_f16 v10, v26, v10, -v12
	v_pack_b32_f16 v7, v9, v7
	v_fmac_f16_e32 v5, v26, v31
	v_mul_f16_sdwa v9, v33, v6 dst_sel:DWORD dst_unused:UNUSED_PAD src0_sel:WORD_1 src1_sel:DWORD
	v_fma_f16 v6, v33, v6, -v11
	s_waitcnt vmcnt(7)
	v_lshrrev_b32_e32 v11, 16, v36
	v_mul_f16_sdwa v12, v34, v36 dst_sel:DWORD dst_unused:UNUSED_PAD src0_sel:WORD_1 src1_sel:DWORD
	ds_write2_b32 v40, v4, v7 offset0:154 offset1:176
	v_pack_b32_f16 v4, v5, v10
	v_fmac_f16_e32 v9, v33, v32
	s_waitcnt vmcnt(6)
	v_lshrrev_b32_e32 v5, 16, v37
	v_mul_f16_sdwa v7, v34, v11 dst_sel:DWORD dst_unused:UNUSED_PAD src0_sel:WORD_1 src1_sel:DWORD
	v_fma_f16 v10, v34, v11, -v12
	v_mul_f16_sdwa v11, v35, v37 dst_sel:DWORD dst_unused:UNUSED_PAD src0_sel:WORD_1 src1_sel:DWORD
	v_pack_b32_f16 v6, v9, v6
	v_mul_f16_sdwa v9, v35, v5 dst_sel:DWORD dst_unused:UNUSED_PAD src0_sel:WORD_1 src1_sel:DWORD
	s_waitcnt vmcnt(5)
	v_lshrrev_b32_e32 v12, 16, v38
	s_waitcnt vmcnt(3)
	v_lshrrev_b32_e32 v13, 16, v2
	v_fma_f16 v5, v35, v5, -v11
	v_mul_f16_sdwa v11, v39, v38 dst_sel:DWORD dst_unused:UNUSED_PAD src0_sel:WORD_1 src1_sel:DWORD
	s_waitcnt vmcnt(2)
	v_lshrrev_b32_e32 v15, 16, v0
	v_mul_f16_sdwa v14, v39, v12 dst_sel:DWORD dst_unused:UNUSED_PAD src0_sel:WORD_1 src1_sel:DWORD
	s_waitcnt vmcnt(1)
	v_mul_f16_sdwa v16, v1, v13 dst_sel:DWORD dst_unused:UNUSED_PAD src0_sel:WORD_1 src1_sel:DWORD
	s_waitcnt vmcnt(0)
	v_mul_f16_sdwa v17, v3, v0 dst_sel:DWORD dst_unused:UNUSED_PAD src0_sel:WORD_1 src1_sel:DWORD
	v_fma_f16 v11, v39, v12, -v11
	v_mul_f16_sdwa v12, v1, v2 dst_sel:DWORD dst_unused:UNUSED_PAD src0_sel:WORD_1 src1_sel:DWORD
	v_mul_f16_sdwa v18, v3, v15 dst_sel:DWORD dst_unused:UNUSED_PAD src0_sel:WORD_1 src1_sel:DWORD
	v_fmac_f16_e32 v7, v34, v36
	v_fmac_f16_e32 v9, v35, v37
	;; [unrolled: 1-line block ×3, first 2 shown]
	v_fma_f16 v12, v1, v13, -v12
	v_fmac_f16_e32 v16, v1, v2
	v_fma_f16 v1, v3, v15, -v17
	v_fmac_f16_e32 v18, v3, v0
	v_pack_b32_f16 v0, v7, v10
	v_pack_b32_f16 v2, v9, v5
	v_pack_b32_f16 v3, v14, v11
	v_pack_b32_f16 v5, v16, v12
	v_pack_b32_f16 v1, v18, v1
	v_pack_b32_f16 v7, v50, v46
                                        ; kill: def $vgpr9 killed $sgpr0 killed $exec
	ds_write2_b32 v40, v4, v6 offset0:198 offset1:220
	ds_write2_b32 v42, v0, v2 offset0:114 offset1:136
	;; [unrolled: 1-line block ×4, first 2 shown]
.LBB0_3:
	s_or_b32 exec_lo, exec_lo, s1
	v_mov_b32_e32 v6, 0
                                        ; kill: def $vgpr0 killed $sgpr0 killed $exec
	s_waitcnt lgkmcnt(0)
	s_barrier
	buffer_gl0_inv
                                        ; implicit-def: $vgpr24
                                        ; implicit-def: $vgpr1
                                        ; implicit-def: $vgpr3
                                        ; implicit-def: $vgpr5
                                        ; implicit-def: $vgpr16
                                        ; implicit-def: $vgpr18
                                        ; implicit-def: $vgpr20
                                        ; implicit-def: $vgpr13
                                        ; implicit-def: $vgpr62
	s_and_saveexec_b32 s0, vcc_lo
	s_cbranch_execz .LBB0_5
; %bb.4:
	v_lshl_add_u32 v9, v23, 2, v28
	ds_read2_b32 v[6:7], v9 offset1:22
	ds_read2_b32 v[12:13], v9 offset0:44 offset1:66
	v_add_nc_u32_e32 v0, 0x400, v9
	ds_read2_b32 v[19:20], v9 offset0:88 offset1:110
	ds_read2_b32 v[17:18], v9 offset0:132 offset1:154
	;; [unrolled: 1-line block ×6, first 2 shown]
	ds_read_b32 v24, v9 offset:1408
	s_waitcnt lgkmcnt(7)
	v_alignbit_b32 v62, v12, v12, 16
.LBB0_5:
	s_or_b32 exec_lo, exec_lo, s0
	s_waitcnt lgkmcnt(0)
	v_pk_add_f16 v26, v7, v24 neg_lo:[0,1] neg_hi:[0,1]
	v_mov_b32_e32 v32, 0xbb29
	v_mov_b32_e32 v34, 0xbbf7
	v_pk_add_f16 v25, v24, v7
	v_mov_b32_e32 v14, 0xba62
	v_pk_add_f16 v31, v1, v62 op_sel:[1,0] op_sel_hi:[0,1]
	v_mul_f16_sdwa v47, v26, v32 dst_sel:DWORD dst_unused:UNUSED_PAD src0_sel:WORD_1 src1_sel:DWORD
	v_mul_f16_sdwa v52, v26, v34 dst_sel:DWORD dst_unused:UNUSED_PAD src0_sel:WORD_1 src1_sel:DWORD
	v_pk_add_f16 v38, v62, v1 op_sel:[1,0] op_sel_hi:[0,1] neg_lo:[0,1] neg_hi:[0,1]
	v_mov_b32_e32 v12, 0xb1e1
	v_lshrrev_b32_e32 v68, 16, v31
	v_fmamk_f16 v9, v25, 0x3722, v47
	v_fmamk_f16 v10, v25, 0x2de8, v52
	v_mul_f16_sdwa v50, v38, v14 dst_sel:DWORD dst_unused:UNUSED_PAD src0_sel:WORD_1 src1_sel:DWORD
	v_pk_add_f16 v39, v13, v0 neg_lo:[0,1] neg_hi:[0,1]
	v_mov_b32_e32 v21, 0x31e1
	v_mul_f16_sdwa v56, v38, v12 dst_sel:DWORD dst_unused:UNUSED_PAD src0_sel:WORD_1 src1_sel:DWORD
	v_add_f16_e32 v9, v9, v6
	v_add_f16_e32 v10, v10, v6
	v_fmamk_f16 v22, v68, 0xb8d2, v50
	v_pk_add_f16 v40, v0, v13
	v_mul_f16_sdwa v54, v39, v21 dst_sel:DWORD dst_unused:UNUSED_PAD src0_sel:WORD_1 src1_sel:DWORD
	v_mov_b32_e32 v21, 0x3bb2
	v_fmamk_f16 v35, v68, 0xbbdd, v56
	v_add_f16_e32 v9, v22, v9
	v_pk_add_f16 v42, v19, v3 neg_lo:[0,1] neg_hi:[0,1]
	v_fmamk_f16 v22, v40, 0xbbdd, v54
	v_mul_f16_sdwa v57, v39, v21 dst_sel:DWORD dst_unused:UNUSED_PAD src0_sel:WORD_1 src1_sel:DWORD
	v_add_f16_e32 v10, v35, v10
	v_mov_b32_e32 v35, 0x35c8
	v_pk_add_f16 v41, v3, v19
	v_add_f16_e32 v9, v22, v9
	v_fmamk_f16 v22, v40, 0xb461, v57
	v_mul_f16_sdwa v55, v42, v21 dst_sel:DWORD dst_unused:UNUSED_PAD src0_sel:WORD_1 src1_sel:DWORD
	v_mul_f16_sdwa v60, v42, v35 dst_sel:DWORD dst_unused:UNUSED_PAD src0_sel:WORD_1 src1_sel:DWORD
	v_mov_b32_e32 v35, 0x3964
	v_pk_add_f16 v44, v20, v2 neg_lo:[0,1] neg_hi:[0,1]
	v_mov_b32_e32 v11, 0xb5c8
	v_add_f16_e32 v10, v22, v10
	v_fmamk_f16 v22, v41, 0xb461, v55
	v_fmamk_f16 v36, v41, 0x3b76, v60
	v_pk_add_f16 v43, v2, v20
	v_mul_f16_sdwa v58, v44, v35 dst_sel:DWORD dst_unused:UNUSED_PAD src0_sel:WORD_1 src1_sel:DWORD
	v_mul_f16_sdwa v63, v44, v32 dst_sel:DWORD dst_unused:UNUSED_PAD src0_sel:WORD_1 src1_sel:DWORD
	v_pk_add_f16 v46, v17, v5 neg_lo:[0,1] neg_hi:[0,1]
	v_mov_b32_e32 v33, 0xb836
	v_add_f16_e32 v9, v22, v9
	v_add_f16_e32 v10, v36, v10
	v_fmamk_f16 v22, v43, 0x39e9, v58
	v_fmamk_f16 v36, v43, 0x3722, v63
	v_pk_add_f16 v45, v5, v17
	v_mul_f16_sdwa v59, v46, v11 dst_sel:DWORD dst_unused:UNUSED_PAD src0_sel:WORD_1 src1_sel:DWORD
	v_pk_add_f16 v49, v18, v4 neg_lo:[0,1] neg_hi:[0,1]
	v_mul_f16_sdwa v65, v46, v33 dst_sel:DWORD dst_unused:UNUSED_PAD src0_sel:WORD_1 src1_sel:DWORD
	v_add_f16_e32 v9, v22, v9
	v_add_f16_e32 v10, v36, v10
	v_fmamk_f16 v22, v45, 0x3b76, v59
	v_pk_add_f16 v48, v4, v18
	v_mov_b32_e32 v36, 0x3a62
	v_mul_f16_sdwa v61, v49, v34 dst_sel:DWORD dst_unused:UNUSED_PAD src0_sel:WORD_1 src1_sel:DWORD
	v_pk_add_f16 v53, v15, v16 neg_lo:[0,1] neg_hi:[0,1]
	v_fmamk_f16 v37, v45, 0xbacd, v65
	v_add_f16_e32 v9, v22, v9
	v_mul_f16_sdwa v69, v49, v36 dst_sel:DWORD dst_unused:UNUSED_PAD src0_sel:WORD_1 src1_sel:DWORD
	v_fmamk_f16 v22, v48, 0x2de8, v61
	v_pk_add_f16 v51, v16, v15
	v_mul_f16_sdwa v66, v53, v33 dst_sel:DWORD dst_unused:UNUSED_PAD src0_sel:WORD_1 src1_sel:DWORD
	v_add_f16_e32 v10, v37, v10
	v_fmamk_f16 v37, v48, 0xb8d2, v69
	v_add_f16_e32 v9, v22, v9
	v_mul_f16_sdwa v85, v26, v14 dst_sel:DWORD dst_unused:UNUSED_PAD src0_sel:WORD_1 src1_sel:DWORD
	v_fmamk_f16 v22, v51, 0xbacd, v66
	v_mul_f16_sdwa v107, v26, v33 dst_sel:DWORD dst_unused:UNUSED_PAD src0_sel:WORD_1 src1_sel:DWORD
	v_mov_b32_e32 v64, 0x3b29
	v_add_f16_e32 v37, v37, v10
	v_mul_f16_sdwa v88, v38, v21 dst_sel:DWORD dst_unused:UNUSED_PAD src0_sel:WORD_1 src1_sel:DWORD
	v_add_f16_e32 v10, v22, v9
	v_fmamk_f16 v9, v25, 0xb8d2, v85
	v_fmamk_f16 v21, v25, 0xbacd, v107
	v_mul_f16_sdwa v111, v38, v64 dst_sel:DWORD dst_unused:UNUSED_PAD src0_sel:WORD_1 src1_sel:DWORD
	v_fmamk_f16 v22, v68, 0xb461, v88
	v_mul_f16_sdwa v89, v39, v11 dst_sel:DWORD dst_unused:UNUSED_PAD src0_sel:WORD_1 src1_sel:DWORD
	v_add_f16_e32 v9, v9, v6
	v_add_f16_e32 v21, v21, v6
	v_fmamk_f16 v67, v68, 0x3722, v111
	v_mul_f16_sdwa v112, v39, v34 dst_sel:DWORD dst_unused:UNUSED_PAD src0_sel:WORD_1 src1_sel:DWORD
	v_mul_f16_sdwa v91, v42, v33 dst_sel:DWORD dst_unused:UNUSED_PAD src0_sel:WORD_1 src1_sel:DWORD
	v_add_f16_e32 v9, v22, v9
	v_fmamk_f16 v22, v40, 0x3b76, v89
	v_add_f16_e32 v21, v67, v21
	v_fmamk_f16 v67, v40, 0x2de8, v112
	v_mul_f16_sdwa v117, v42, v36 dst_sel:DWORD dst_unused:UNUSED_PAD src0_sel:WORD_1 src1_sel:DWORD
	v_mov_b32_e32 v36, 0x3bf7
	v_mul_f16_sdwa v72, v53, v35 dst_sel:DWORD dst_unused:UNUSED_PAD src0_sel:WORD_1 src1_sel:DWORD
	v_add_f16_e32 v9, v22, v9
	v_add_f16_e32 v21, v67, v21
	v_fmamk_f16 v22, v41, 0xbacd, v91
	v_fmamk_f16 v67, v41, 0xb8d2, v117
	v_mul_f16_sdwa v92, v44, v36 dst_sel:DWORD dst_unused:UNUSED_PAD src0_sel:WORD_1 src1_sel:DWORD
	v_mov_b32_e32 v71, 0xb964
	v_fmamk_f16 v70, v51, 0x39e9, v72
	v_mul_f16_sdwa v122, v44, v11 dst_sel:DWORD dst_unused:UNUSED_PAD src0_sel:WORD_1 src1_sel:DWORD
	v_add_f16_e32 v22, v22, v9
	v_add_f16_e32 v21, v67, v21
	v_fmamk_f16 v67, v43, 0x2de8, v92
	v_mul_f16_sdwa v87, v46, v71 dst_sel:DWORD dst_unused:UNUSED_PAD src0_sel:WORD_1 src1_sel:DWORD
	v_fmamk_f16 v73, v43, 0x3b76, v122
	v_mul_f16_sdwa v113, v46, v12 dst_sel:DWORD dst_unused:UNUSED_PAD src0_sel:WORD_1 src1_sel:DWORD
	v_add_f16_e32 v9, v70, v37
	v_add_f16_e32 v22, v67, v22
	v_fmamk_f16 v37, v45, 0x39e9, v87
	v_add_f16_e32 v21, v73, v21
	v_fmamk_f16 v67, v45, 0xbbdd, v113
	v_mul_f16_sdwa v90, v49, v12 dst_sel:DWORD dst_unused:UNUSED_PAD src0_sel:WORD_1 src1_sel:DWORD
	v_mul_f16_sdwa v116, v49, v35 dst_sel:DWORD dst_unused:UNUSED_PAD src0_sel:WORD_1 src1_sel:DWORD
	v_add_f16_e32 v22, v37, v22
	v_mov_b32_e32 v37, 0xbbb2
	v_add_f16_e32 v21, v67, v21
	v_fmamk_f16 v67, v48, 0xbbdd, v90
	v_fmamk_f16 v73, v48, 0x39e9, v116
	v_mul_f16_sdwa v86, v53, v64 dst_sel:DWORD dst_unused:UNUSED_PAD src0_sel:WORD_1 src1_sel:DWORD
	v_mul_f16_sdwa v121, v53, v37 dst_sel:DWORD dst_unused:UNUSED_PAD src0_sel:WORD_1 src1_sel:DWORD
	;; [unrolled: 1-line block ×3, first 2 shown]
	v_add_f16_e32 v22, v67, v22
	v_add_f16_e32 v21, v73, v21
	v_fmamk_f16 v64, v51, 0x3722, v86
	v_fmamk_f16 v67, v51, 0xb461, v121
	v_fmamk_f16 v73, v25, 0x3b76, v70
	v_mul_f16_sdwa v71, v38, v71 dst_sel:DWORD dst_unused:UNUSED_PAD src0_sel:WORD_1 src1_sel:DWORD
	v_lshrrev_b32_e32 v149, 16, v25
	v_mul_f16_e32 v74, 0xb964, v26
	v_add_f16_e32 v22, v64, v22
	v_add_f16_e32 v64, v73, v6
	v_fmamk_f16 v73, v68, 0x39e9, v71
	v_add_f16_e32 v21, v67, v21
	v_fma_f16 v67, v149, 0x39e9, -v74
	v_mul_f16_e32 v75, 0xbbf7, v38
	v_mul_f16_e32 v80, 0xbb29, v26
	v_add_f16_e32 v64, v73, v64
	v_mul_f16_e32 v95, 0xbbf7, v26
	v_add_f16_sdwa v67, v67, v6 dst_sel:DWORD dst_unused:UNUSED_PAD src0_sel:DWORD src1_sel:WORD_1
	v_fma_f16 v73, v31, 0x2de8, -v75
	v_fma_f16 v76, v149, 0x3722, -v80
	v_mul_f16_e32 v81, 0xba62, v38
	v_fma_f16 v77, v149, 0x2de8, -v95
	v_mul_f16_e32 v96, 0xb1e1, v38
	v_add_f16_e32 v67, v73, v67
	v_add_f16_sdwa v73, v76, v6 dst_sel:DWORD dst_unused:UNUSED_PAD src0_sel:DWORD src1_sel:WORD_1
	v_fma_f16 v76, v31, 0xb8d2, -v81
	v_mul_f16_sdwa v99, v26, v37 dst_sel:DWORD dst_unused:UNUSED_PAD src0_sel:WORD_1 src1_sel:DWORD
	v_mov_b32_e32 v79, 0x3836
	v_add_f16_sdwa v77, v77, v6 dst_sel:DWORD dst_unused:UNUSED_PAD src0_sel:DWORD src1_sel:WORD_1
	v_fma_f16 v78, v31, 0xbbdd, -v96
	v_mul_f16_e32 v123, 0xbbb2, v26
	v_add_f16_e32 v76, v76, v73
	v_fmamk_f16 v73, v25, 0xb461, v99
	v_mul_f16_sdwa v101, v38, v79 dst_sel:DWORD dst_unused:UNUSED_PAD src0_sel:WORD_1 src1_sel:DWORD
	v_mul_f16_e32 v145, 0xba62, v26
	v_add_f16_e32 v78, v78, v77
	v_fma_f16 v77, v149, 0xb461, -v123
	v_mul_f16_e32 v124, 0x3836, v38
	v_add_f16_e32 v73, v73, v6
	v_fmamk_f16 v79, v68, 0xbacd, v101
	v_fma_f16 v83, v149, 0xb8d2, -v145
	v_mul_f16_e32 v146, 0x3bb2, v38
	v_mul_f16_e32 v158, 0xb836, v26
	v_add_f16_sdwa v77, v77, v6 dst_sel:DWORD dst_unused:UNUSED_PAD src0_sel:DWORD src1_sel:WORD_1
	v_fma_f16 v82, v31, 0xbacd, -v124
	v_add_f16_e32 v79, v79, v73
	v_add_f16_sdwa v83, v83, v6 dst_sel:DWORD dst_unused:UNUSED_PAD src0_sel:DWORD src1_sel:WORD_1
	v_fma_f16 v84, v31, 0xb461, -v146
	v_fma_f16 v93, v149, 0xbacd, -v158
	v_mul_f16_e32 v159, 0x3b29, v38
	v_mul_f16_sdwa v73, v39, v32 dst_sel:DWORD dst_unused:UNUSED_PAD src0_sel:WORD_1 src1_sel:DWORD
	v_add_f16_e32 v82, v82, v77
	v_lshrrev_b32_e32 v147, 16, v40
	v_mul_f16_e32 v77, 0xba62, v39
	v_add_f16_e32 v83, v84, v83
	v_add_f16_sdwa v84, v93, v6 dst_sel:DWORD dst_unused:UNUSED_PAD src0_sel:DWORD src1_sel:WORD_1
	v_fma_f16 v93, v31, 0x3722, -v159
	v_fmamk_f16 v97, v40, 0x3722, v73
	v_mul_f16_e32 v94, 0x31e1, v39
	v_mul_f16_e32 v102, 0x3bb2, v39
	v_fma_f16 v98, v147, 0xb8d2, -v77
	v_add_f16_e32 v84, v93, v84
	v_add_f16_e32 v64, v97, v64
	v_fma_f16 v93, v147, 0xbbdd, -v94
	v_fma_f16 v97, v147, 0xb461, -v102
	v_mul_f16_sdwa v125, v39, v35 dst_sel:DWORD dst_unused:UNUSED_PAD src0_sel:WORD_1 src1_sel:DWORD
	v_mul_f16_e32 v130, 0x3964, v39
	v_mul_f16_e32 v152, 0xb5c8, v39
	v_add_f16_e32 v67, v98, v67
	v_add_f16_e32 v35, v93, v76
	;; [unrolled: 1-line block ×3, first 2 shown]
	v_fmamk_f16 v93, v40, 0x39e9, v125
	v_fma_f16 v97, v147, 0x39e9, -v130
	v_fma_f16 v98, v147, 0x3b76, -v152
	v_mul_f16_e32 v163, 0xbbf7, v39
	v_mul_f16_sdwa v76, v42, v34 dst_sel:DWORD dst_unused:UNUSED_PAD src0_sel:WORD_1 src1_sel:DWORD
	v_add_f16_e32 v34, v93, v79
	v_add_f16_e32 v82, v97, v82
	;; [unrolled: 1-line block ×3, first 2 shown]
	v_fma_f16 v83, v147, 0x2de8, -v163
	v_fmamk_f16 v98, v41, 0x2de8, v76
	v_lshrrev_b32_e32 v151, 16, v41
	v_mul_f16_e32 v79, 0xb1e1, v42
	v_mul_f16_e32 v97, 0x3bb2, v42
	;; [unrolled: 1-line block ×3, first 2 shown]
	v_add_f16_e32 v84, v83, v84
	v_add_f16_e32 v64, v98, v64
	v_fma_f16 v83, v151, 0xbbdd, -v79
	v_fma_f16 v98, v151, 0xb461, -v97
	v_mul_f16_sdwa v126, v42, v32 dst_sel:DWORD dst_unused:UNUSED_PAD src0_sel:WORD_1 src1_sel:DWORD
	v_mul_f16_e32 v141, 0xbb29, v42
	v_fma_f16 v100, v151, 0x3b76, -v115
	v_add_f16_e32 v32, v83, v67
	v_add_f16_e32 v35, v98, v35
	v_fmamk_f16 v83, v41, 0x3722, v126
	v_fma_f16 v98, v151, 0x3722, -v141
	v_mul_f16_e32 v156, 0xb836, v42
	v_add_f16_e32 v67, v100, v78
	v_mul_f16_sdwa v78, v44, v37 dst_sel:DWORD dst_unused:UNUSED_PAD src0_sel:WORD_1 src1_sel:DWORD
	v_add_f16_e32 v34, v83, v34
	v_add_f16_e32 v37, v98, v82
	v_fma_f16 v82, v151, 0xbacd, -v156
	v_lshrrev_b32_e32 v153, 16, v43
	v_mul_f16_e32 v83, 0x3836, v44
	v_mul_f16_e32 v166, 0x3a62, v42
	;; [unrolled: 1-line block ×3, first 2 shown]
	v_add_f16_e32 v104, v82, v93
	v_fmamk_f16 v103, v43, 0xb461, v78
	v_fma_f16 v82, v153, 0xbacd, -v83
	v_fma_f16 v98, v151, 0xb8d2, -v166
	v_mul_f16_e32 v169, 0xb5c8, v44
	v_mul_f16_e32 v100, 0x3964, v44
	v_add_f16_e32 v64, v103, v64
	v_add_f16_e32 v32, v82, v32
	v_fma_f16 v82, v153, 0x3722, -v127
	v_add_f16_e32 v84, v98, v84
	v_mul_f16_e32 v144, 0xb1e1, v44
	v_fma_f16 v103, v153, 0x3b76, -v169
	v_fma_f16 v93, v153, 0x39e9, -v100
	v_add_f16_e32 v67, v82, v67
	v_mul_f16_sdwa v82, v46, v14 dst_sel:DWORD dst_unused:UNUSED_PAD src0_sel:WORD_1 src1_sel:DWORD
	v_mul_f16_sdwa v139, v44, v12 dst_sel:DWORD dst_unused:UNUSED_PAD src0_sel:WORD_1 src1_sel:DWORD
	v_fma_f16 v98, v153, 0xbbdd, -v144
	v_mul_f16_e32 v162, 0x3bf7, v44
	v_lshrrev_b32_e32 v155, 16, v45
	v_mul_f16_e32 v119, 0xb5c8, v46
	v_add_f16_e32 v103, v103, v84
	v_fmamk_f16 v84, v45, 0xb8d2, v82
	v_mul_f16_e32 v140, 0xb836, v46
	v_add_f16_e32 v35, v93, v35
	v_fmamk_f16 v93, v43, 0xbbdd, v139
	v_add_f16_e32 v37, v98, v37
	v_fma_f16 v98, v153, 0x2de8, -v162
	v_fma_f16 v105, v155, 0x3b76, -v119
	v_mul_f16_sdwa v142, v46, v36 dst_sel:DWORD dst_unused:UNUSED_PAD src0_sel:WORD_1 src1_sel:DWORD
	v_add_f16_e32 v36, v84, v64
	v_fma_f16 v64, v155, 0xbacd, -v140
	v_mul_f16_e32 v150, 0x3bf7, v46
	v_mul_f16_e32 v164, 0xb964, v46
	v_add_f16_e32 v34, v93, v34
	v_add_f16_e32 v104, v98, v104
	;; [unrolled: 1-line block ×3, first 2 shown]
	v_fmamk_f16 v84, v45, 0x2de8, v142
	v_add_f16_e32 v64, v64, v67
	v_fma_f16 v67, v155, 0x2de8, -v150
	v_fma_f16 v105, v155, 0x39e9, -v164
	v_lshrrev_b32_e32 v157, 16, v48
	v_mul_f16_e32 v136, 0xbbf7, v49
	v_mul_f16_e32 v93, 0x3bb2, v46
	;; [unrolled: 1-line block ×3, first 2 shown]
	v_add_f16_e32 v34, v84, v34
	v_mul_f16_sdwa v84, v49, v33 dst_sel:DWORD dst_unused:UNUSED_PAD src0_sel:WORD_1 src1_sel:DWORD
	v_add_f16_e32 v33, v67, v37
	v_add_f16_e32 v37, v105, v104
	v_fma_f16 v104, v157, 0x2de8, -v136
	v_mul_f16_e32 v160, 0xb5c8, v49
	v_fma_f16 v98, v155, 0xb461, -v93
	v_fma_f16 v106, v155, 0xbbdd, -v171
	v_fmamk_f16 v67, v48, 0xbacd, v84
	v_pk_mul_f16 v120, 0x3b7639e9, v25
	v_mul_f16_sdwa v154, v49, v11 dst_sel:DWORD dst_unused:UNUSED_PAD src0_sel:WORD_1 src1_sel:DWORD
	v_add_f16_e32 v35, v104, v35
	v_fma_f16 v114, v157, 0x3b76, -v160
	v_mul_f16_e32 v173, 0x3964, v49
	v_mul_f16_sdwa v104, v53, v12 dst_sel:DWORD dst_unused:UNUSED_PAD src0_sel:WORD_1 src1_sel:DWORD
	v_add_f16_e32 v32, v98, v32
	v_mul_f16_e32 v98, 0x3b29, v49
	v_add_f16_e32 v118, v106, v103
	v_pk_mul_f16 v129, 0xbbf7b964, v38
	v_pk_fma_f16 v106, 0xb964b5c8, v26, v120 op_sel:[0,0,1] op_sel_hi:[1,1,0]
	v_add_f16_e32 v36, v67, v36
	v_fmamk_f16 v110, v48, 0x3b76, v154
	v_mul_f16_e32 v170, 0xb1e1, v49
	v_add_f16_e32 v176, v114, v33
	v_fma_f16 v12, v157, 0x39e9, -v173
	v_fmamk_f16 v33, v51, 0xbbdd, v104
	v_pk_fma_f16 v135, 0xb964b5c8, v26, v120 op_sel:[0,0,1] op_sel_hi:[1,1,0] neg_lo:[0,1,0] neg_hi:[0,1,0]
	v_fma_f16 v103, v157, 0x3722, -v98
	v_pk_fma_f16 v109, 0x2de839e9, v31, v129
	v_add_f16_sdwa v11, v106, v6 dst_sel:DWORD dst_unused:UNUSED_PAD src0_sel:WORD_1 src1_sel:DWORD
	v_pk_mul_f16 v67, 0x3722b8d2, v40
	v_add_f16_e32 v175, v110, v34
	v_fma_f16 v34, v157, 0xbbdd, -v170
	v_add_f16_e32 v179, v12, v118
	v_lshrrev_b32_e32 v168, 16, v51
	v_mul_f16_e32 v128, 0x35c8, v53
	v_add_f16_e32 v12, v33, v36
	v_pk_fma_f16 v137, 0x2de839e9, v31, v129 neg_lo:[0,0,1] neg_hi:[0,0,1]
	v_add_f16_sdwa v33, v135, v6 dst_sel:DWORD dst_unused:UNUSED_PAD src0_sel:DWORD src1_sel:WORD_1
	v_mul_f16_e32 v148, 0x3a62, v49
	v_add_f16_e32 v32, v103, v32
	v_add_f16_sdwa v11, v109, v11 dst_sel:DWORD dst_unused:UNUSED_PAD src0_sel:WORD_1 src1_sel:DWORD
	v_pk_fma_f16 v103, 0xba62bb29, v39, v67 op_sel:[0,0,1] op_sel_hi:[1,1,0]
	v_pk_mul_f16 v131, 0x2de8bbdd, v41
	v_add_f16_e32 v178, v34, v37
	v_fma_f16 v34, v168, 0x3b76, -v128
	v_mul_f16_e32 v143, 0xb836, v53
	v_pk_fma_f16 v129, 0xba62bb29, v39, v67 op_sel:[0,0,1] op_sel_hi:[1,1,0] neg_lo:[0,1,0] neg_hi:[0,1,0]
	v_add_f16_e32 v36, v137, v33
	v_fma_f16 v108, v157, 0xb8d2, -v148
	v_add_f16_sdwa v11, v103, v11 dst_sel:DWORD dst_unused:UNUSED_PAD src0_sel:WORD_1 src1_sel:DWORD
	v_pk_fma_f16 v105, 0xb1e1bbf7, v42, v131 op_sel:[0,0,1] op_sel_hi:[1,1,0]
	v_pk_mul_f16 v132, 0xb461bacd, v43
	v_add_f16_e32 v33, v34, v32
	v_fma_f16 v32, v168, 0xbacd, -v143
	v_pk_fma_f16 v131, 0xb1e1bbf7, v42, v131 op_sel:[0,0,1] op_sel_hi:[1,1,0] neg_lo:[0,1,0] neg_hi:[0,1,0]
	v_add_f16_e32 v36, v129, v36
	v_add_f16_e32 v64, v108, v64
	v_add_f16_sdwa v11, v105, v11 dst_sel:DWORD dst_unused:UNUSED_PAD src0_sel:WORD_1 src1_sel:DWORD
	v_pk_fma_f16 v108, 0x3836bbb2, v44, v132 op_sel:[0,0,1] op_sel_hi:[1,1,0]
	v_pk_mul_f16 v134, 0xb8d2b461, v45
	v_add_f16_e32 v34, v32, v35
	v_pk_fma_f16 v133, 0x3836bbb2, v44, v132 op_sel:[0,0,1] op_sel_hi:[1,1,0] neg_lo:[0,1,0] neg_hi:[0,1,0]
	v_add_f16_e32 v32, v131, v36
	v_add_f16_sdwa v11, v108, v11 dst_sel:DWORD dst_unused:UNUSED_PAD src0_sel:WORD_1 src1_sel:DWORD
	v_pk_fma_f16 v110, 0x3bb2ba62, v46, v134 op_sel:[0,0,1] op_sel_hi:[1,1,0]
	v_pk_mul_f16 v138, 0xbacd3722, v48
	v_mul_f16_e32 v161, 0x3964, v53
	v_pk_fma_f16 v132, 0x3bb2ba62, v46, v134 op_sel:[0,0,1] op_sel_hi:[1,1,0] neg_lo:[0,1,0] neg_hi:[0,1,0]
	v_add_f16_e32 v32, v133, v32
	s_clause 0x1
	s_load_dwordx2 s[6:7], s[4:5], 0x20
	s_load_dwordx2 s[2:3], s[4:5], 0x8
	v_add_f16_sdwa v11, v110, v11 dst_sel:DWORD dst_unused:UNUSED_PAD src0_sel:WORD_1 src1_sel:DWORD
	v_pk_fma_f16 v114, 0x3b29b836, v49, v138 op_sel:[0,0,1] op_sel_hi:[1,1,0]
	v_pk_mul_f16 v177, 0xbbdd3b76, v51
	v_fma_f16 v37, v168, 0x39e9, -v161
	v_mul_f16_e32 v167, 0xba62, v53
	v_mul_f16_e32 v172, 0x3b29, v53
	;; [unrolled: 1-line block ×3, first 2 shown]
	v_pk_fma_f16 v134, 0x3b29b836, v49, v138 op_sel:[0,0,1] op_sel_hi:[1,1,0] neg_lo:[0,1,0] neg_hi:[0,1,0]
	v_add_f16_e32 v32, v132, v32
	v_mul_f16_sdwa v165, v53, v14 dst_sel:DWORD dst_unused:UNUSED_PAD src0_sel:WORD_1 src1_sel:DWORD
	v_add_f16_sdwa v11, v114, v11 dst_sel:DWORD dst_unused:UNUSED_PAD src0_sel:WORD_1 src1_sel:DWORD
	v_pk_fma_f16 v118, 0x35c8b1e1, v53, v177 op_sel:[0,0,1] op_sel_hi:[1,1,0]
	v_add_f16_e32 v35, v37, v64
	v_fma_f16 v36, v168, 0xb8d2, -v167
	v_fma_f16 v14, v168, 0x3722, -v172
	;; [unrolled: 1-line block ×3, first 2 shown]
	v_pk_fma_f16 v138, 0x35c8b1e1, v53, v177 op_sel:[0,0,1] op_sel_hi:[1,1,0] neg_lo:[0,1,0] neg_hi:[0,1,0]
	v_add_f16_e32 v32, v134, v32
	v_fmamk_f16 v120, v51, 0xb8d2, v165
	v_add_f16_sdwa v11, v118, v11 dst_sel:DWORD dst_unused:UNUSED_PAD src0_sel:WORD_1 src1_sel:DWORD
	v_add_f16_e32 v37, v36, v176
	v_add_f16_e32 v67, v14, v178
	;; [unrolled: 1-line block ×5, first 2 shown]
	v_mul_lo_u16 v32, v29, 17
	s_waitcnt lgkmcnt(0)
	s_barrier
	buffer_gl0_inv
	s_and_saveexec_b32 s0, vcc_lo
	s_cbranch_execz .LBB0_7
; %bb.6:
	v_mul_f16_e32 v178, 0xbacd, v149
	v_mul_f16_e32 v185, 0xbacd, v25
	;; [unrolled: 1-line block ×5, first 2 shown]
	v_add_f16_e32 v158, v158, v178
	v_mul_f16_e32 v178, 0x3722, v31
	v_sub_f16_e32 v107, v185, v107
	v_add_f16_e32 v169, v169, v190
	v_mul_f16_e32 v181, 0x2de8, v149
	v_add_f16_sdwa v158, v158, v6 dst_sel:DWORD dst_unused:UNUSED_PAD src0_sel:DWORD src1_sel:WORD_1
	v_add_f16_e32 v159, v159, v178
	v_mul_f16_e32 v178, 0x2de8, v147
	v_add_f16_e32 v107, v107, v6
	v_mul_f16_e32 v183, 0xb461, v149
	v_mul_f16_e32 v149, 0xb8d2, v149
	v_add_f16_e32 v158, v159, v158
	v_add_f16_e32 v159, v163, v178
	v_mul_f16_e32 v163, 0xb8d2, v151
	v_mul_f16_e32 v190, 0xbbdd, v155
	v_add_f16_e32 v145, v145, v149
	v_mul_f16_e32 v184, 0xb8d2, v25
	v_add_f16_e32 v158, v159, v158
	v_add_f16_e32 v159, v166, v163
	;; [unrolled: 1-line block ×3, first 2 shown]
	v_add_f16_sdwa v145, v145, v6 dst_sel:DWORD dst_unused:UNUSED_PAD src0_sel:DWORD src1_sel:WORD_1
	v_mul_f16_e32 v186, 0x39e9, v68
	v_mul_f16_e32 v187, 0xb8d2, v68
	v_add_f16_e32 v158, v159, v158
	v_mul_f16_e32 v159, 0x3722, v68
	v_mul_f16_e32 v163, 0xbbdd, v68
	v_mul_f16_e32 v189, 0xbacd, v68
	v_mul_f16_e32 v68, 0xb461, v68
	v_add_f16_e32 v158, v169, v158
	v_sub_f16_e32 v111, v159, v111
	v_mul_f16_e32 v169, 0x2de8, v40
	v_mul_f16_e32 v159, 0xb461, v31
	v_sub_f16_e32 v85, v184, v85
	v_add_f16_e32 v158, v171, v158
	v_add_f16_e32 v107, v111, v107
	v_sub_f16_e32 v112, v169, v112
	v_mul_f16_e32 v169, 0xb8d2, v41
	v_mul_f16_e32 v111, 0x39e9, v157
	;; [unrolled: 1-line block ×3, first 2 shown]
	v_add_f16_e32 v146, v146, v159
	v_add_f16_e32 v107, v112, v107
	v_sub_f16_e32 v112, v169, v117
	v_mul_f16_e32 v169, 0x3b76, v43
	v_add_f16_e32 v111, v173, v111
	v_mul_f16_e32 v117, 0xbbdd, v147
	v_add_f16_e32 v145, v146, v145
	v_add_f16_e32 v107, v112, v107
	v_sub_f16_e32 v122, v169, v122
	v_mul_f16_e32 v112, 0xb461, v168
	v_mul_f16_e32 v169, 0xb461, v147
	v_add_f16_e32 v111, v111, v158
	v_mul_f16_e32 v159, 0x3b76, v40
	v_add_f16_e32 v107, v122, v107
	;; [unrolled: 2-line block ×3, first 2 shown]
	v_mul_f16_e32 v174, 0x39e9, v147
	v_mul_f16_e32 v147, 0x3b76, v147
	v_sub_f16_e32 v68, v68, v88
	v_sub_f16_e32 v113, v122, v113
	v_add_f16_e32 v111, v112, v111
	v_mul_f16_e32 v112, 0x2de8, v153
	v_add_f16_e32 v147, v152, v147
	v_add_f16_e32 v85, v85, v6
	;; [unrolled: 1-line block ×3, first 2 shown]
	v_mul_f16_e32 v113, 0xbacd, v151
	v_add_f16_e32 v112, v162, v112
	v_add_f16_e32 v145, v147, v145
	;; [unrolled: 1-line block ×3, first 2 shown]
	v_sub_f16_e32 v89, v159, v89
	v_add_f16_e32 v113, v156, v113
	v_mul_f16_e32 v185, 0xbacd, v31
	v_add_f16_e32 v123, v123, v183
	v_mul_f16_e32 v146, 0x39e9, v48
	v_add_f16_e32 v68, v89, v68
	v_add_f16_e32 v113, v113, v145
	;; [unrolled: 1-line block ×3, first 2 shown]
	v_add_f16_sdwa v123, v123, v6 dst_sel:DWORD dst_unused:UNUSED_PAD src0_sel:DWORD src1_sel:WORD_1
	v_mul_f16_e32 v182, 0xb461, v25
	v_sub_f16_e32 v116, v146, v116
	v_add_f16_e32 v112, v112, v113
	v_mul_f16_e32 v113, 0xbacd, v41
	v_add_f16_e32 v123, v124, v123
	v_mul_f16_e32 v124, 0xbbdd, v48
	;; [unrolled: 2-line block ×3, first 2 shown]
	v_sub_f16_e32 v91, v113, v91
	v_mul_f16_e32 v113, 0x2de8, v43
	v_sub_f16_e32 v90, v124, v90
	v_sub_f16_e32 v99, v182, v99
	v_mul_f16_e32 v182, 0x3722, v51
	v_add_f16_e32 v68, v91, v68
	v_sub_f16_e32 v92, v113, v92
	v_sub_f16_e32 v116, v116, v121
	v_mul_f16_e32 v121, 0x39e9, v155
	v_sub_f16_e32 v86, v182, v86
	v_mul_f16_e32 v166, 0xbbdd, v31
	v_add_f16_e32 v68, v92, v68
	v_mul_f16_e32 v92, 0x39e9, v45
	v_add_f16_e32 v121, v164, v121
	;; [unrolled: 2-line block ×3, first 2 shown]
	v_mul_f16_e32 v145, 0x3b76, v151
	v_sub_f16_e32 v87, v92, v87
	v_add_f16_e32 v112, v121, v112
	v_mul_f16_e32 v121, 0xbbdd, v157
	v_mul_f16_e32 v89, 0x3722, v168
	v_sub_f16_e32 v52, v180, v52
	v_add_f16_e32 v68, v87, v68
	v_mul_f16_e32 v158, 0xb461, v40
	v_add_f16_e32 v121, v170, v121
	v_mul_f16_e32 v159, 0x3722, v153
	v_add_f16_e32 v89, v172, v89
	v_add_f16_e32 v68, v90, v68
	;; [unrolled: 1-line block ×4, first 2 shown]
	v_sub_f16_e32 v56, v163, v56
	v_mul_f16_e32 v152, 0xbbdd, v151
	v_add_f16_e32 v68, v86, v68
	v_add_f16_e32 v86, v95, v181
	v_mul_f16_e32 v147, 0xb461, v151
	v_mul_f16_e32 v156, 0x3b76, v41
	;; [unrolled: 1-line block ×3, first 2 shown]
	v_add_f16_e32 v89, v89, v112
	v_add_f16_sdwa v86, v86, v6 dst_sel:DWORD dst_unused:UNUSED_PAD src0_sel:DWORD src1_sel:WORD_1
	v_mul_f16_e32 v112, 0xbacd, v155
	v_add_f16_e32 v52, v56, v52
	v_sub_f16_e32 v56, v158, v57
	v_mul_f16_e32 v188, 0xb8d2, v31
	v_add_f16_e32 v86, v96, v86
	v_add_f16_e32 v96, v102, v169
	v_mul_f16_e32 v85, 0x3722, v43
	v_add_f16_e32 v130, v130, v174
	v_add_f16_e32 v141, v141, v151
	;; [unrolled: 3-line block ×3, first 2 shown]
	v_sub_f16_e32 v101, v189, v101
	v_add_f16_e32 v99, v99, v6
	v_add_f16_e32 v80, v80, v179
	v_add_f16_e32 v52, v56, v52
	v_add_f16_e32 v86, v96, v86
	v_add_f16_e32 v96, v127, v159
	v_sub_f16_e32 v56, v156, v60
	v_mul_f16_e32 v164, 0xbacd, v153
	v_add_f16_e32 v107, v116, v107
	v_mul_f16_e32 v116, 0x39e9, v153
	v_add_f16_e32 v57, v96, v86
	v_add_f16_e32 v86, v140, v112
	v_mul_f16_e32 v153, 0xbbdd, v153
	v_mul_f16_e32 v183, 0xbacd, v45
	v_add_f16_e32 v123, v130, v123
	v_add_f16_e32 v99, v101, v99
	v_mul_f16_e32 v101, 0x39e9, v168
	v_add_f16_e32 v57, v86, v57
	v_add_f16_e32 v60, v148, v151
	v_add_f16_sdwa v80, v80, v6 dst_sel:DWORD dst_unused:UNUSED_PAD src0_sel:DWORD src1_sel:WORD_1
	v_add_f16_e32 v81, v81, v188
	v_add_f16_e32 v52, v56, v52
	v_sub_f16_e32 v56, v85, v63
	v_mul_f16_e32 v177, 0x3722, v25
	v_mul_f16_e32 v130, 0xb8d2, v48
	v_add_f16_e32 v123, v141, v123
	v_add_f16_e32 v144, v144, v153
	;; [unrolled: 1-line block ×7, first 2 shown]
	v_sub_f16_e32 v56, v183, v65
	v_add_f16_e32 v123, v144, v123
	v_mul_f16_e32 v144, 0x39e9, v51
	v_add_f16_e32 v57, v60, v57
	v_sub_f16_e32 v47, v177, v47
	v_add_f16_e32 v60, v80, v63
	v_add_f16_e32 v63, v97, v147
	;; [unrolled: 1-line block ×3, first 2 shown]
	v_sub_f16_e32 v56, v130, v69
	v_alignbit_b32 v120, v6, v6, 16
	v_mul_f16_e32 v173, 0xbbdd, v40
	v_mul_f16_e32 v113, 0x3b76, v155
	v_add_f16_e32 v47, v47, v6
	v_sub_f16_e32 v50, v187, v50
	v_add_f16_e32 v60, v63, v60
	v_add_f16_e32 v63, v100, v116
	v_add_f16_e32 v52, v56, v52
	v_sub_f16_e32 v56, v144, v72
	v_alignbit_b32 v62, v62, v62, 16
	v_mul_f16_e32 v178, 0x2de8, v31
	v_mul_f16_e32 v146, 0xb461, v41
	;; [unrolled: 1-line block ×3, first 2 shown]
	v_add_f16_e32 v47, v50, v47
	v_sub_f16_e32 v50, v173, v54
	v_add_f16_e32 v54, v63, v60
	v_add_f16_e32 v60, v119, v113
	;; [unrolled: 1-line block ×4, first 2 shown]
	v_pk_add_f16 v7, v7, v120 op_sel:[0,1] op_sel_hi:[1,0]
	v_mul_f16_e32 v88, 0x39e9, v43
	v_add_f16_e32 v47, v50, v47
	v_sub_f16_e32 v50, v146, v55
	v_add_f16_e32 v54, v60, v54
	v_add_f16_e32 v55, v136, v124
	v_add_f16_sdwa v56, v56, v6 dst_sel:DWORD dst_unused:UNUSED_PAD src0_sel:DWORD src1_sel:WORD_1
	v_add_f16_e32 v60, v75, v178
	v_pk_add_f16 v7, v62, v7
	v_mul_f16_e32 v91, 0x3b76, v45
	v_mul_f16_e32 v182, 0xbacd, v168
	v_add_f16_e32 v47, v50, v47
	v_sub_f16_e32 v50, v88, v58
	v_add_f16_e32 v54, v55, v54
	v_add_f16_e32 v55, v60, v56
	;; [unrolled: 1-line block ×3, first 2 shown]
	v_pk_add_f16 v7, v13, v7
	v_add_f16_e32 v47, v50, v47
	v_sub_f16_e32 v50, v91, v59
	v_add_f16_e32 v58, v143, v182
	v_add_f16_e32 v55, v56, v55
	;; [unrolled: 1-line block ×3, first 2 shown]
	v_pk_add_f16 v7, v19, v7
	v_mul_f16_e32 v175, 0x3b76, v25
	v_mul_f16_e32 v172, 0xb461, v155
	v_add_f16_e32 v47, v50, v47
	v_add_f16_e32 v50, v58, v54
	;; [unrolled: 1-line block ×4, first 2 shown]
	v_pk_add_f16 v7, v20, v7
	v_mul_f16_e32 v174, 0x3722, v157
	v_mul_f16_e32 v87, 0x2de8, v48
	v_sub_f16_e32 v19, v175, v70
	v_add_f16_e32 v54, v55, v54
	v_add_f16_e32 v20, v93, v172
	v_pk_add_f16 v7, v17, v7
	v_mul_f16_e32 v190, 0x3722, v40
	v_mul_f16_e32 v189, 0xbacd, v51
	v_sub_f16_e32 v13, v87, v61
	v_add_f16_e32 v6, v19, v6
	v_sub_f16_e32 v19, v186, v71
	v_add_f16_e32 v17, v20, v54
	v_add_f16_e32 v20, v98, v174
	v_pk_add_f16 v7, v18, v7
	v_bfi_b32 v18, 0xffff, v106, v135
	v_mul_f16_e32 v122, 0x2de8, v41
	v_add_f16_e32 v13, v13, v47
	v_sub_f16_e32 v47, v189, v66
	v_add_f16_e32 v6, v19, v6
	v_sub_f16_e32 v19, v190, v73
	v_add_f16_e32 v17, v20, v17
	v_bfi_b32 v20, 0xffff, v109, v137
	v_pk_add_f16 v7, v15, v7
	v_pk_add_f16 v15, v18, v120
	v_add_f16_e32 v13, v47, v13
	v_add_f16_e32 v6, v19, v6
	v_sub_f16_e32 v18, v122, v76
	v_bfi_b32 v47, 0xffff, v103, v129
	v_pk_add_f16 v7, v16, v7
	v_pk_add_f16 v15, v20, v15
	v_mul_f16_e32 v184, 0xb461, v43
	v_mul_f16_e32 v153, 0x3b76, v168
	v_add_f16_e32 v6, v18, v6
	v_bfi_b32 v18, 0xffff, v105, v131
	v_pk_add_f16 v4, v4, v7
	v_pk_add_f16 v7, v47, v15
	v_mul_f16_e32 v121, 0xb8d2, v45
	v_add_f16_e32 v19, v128, v153
	v_sub_f16_e32 v16, v184, v78
	v_bfi_b32 v15, 0xffff, v108, v133
	v_pk_add_f16 v4, v5, v4
	v_pk_add_f16 v5, v18, v7
	v_mul_f16_e32 v92, 0xbacd, v48
	v_add_f16_e32 v6, v16, v6
	v_sub_f16_e32 v16, v121, v82
	v_add_f16_e32 v7, v19, v17
	v_bfi_b32 v17, 0xffff, v110, v132
	v_pk_add_f16 v2, v2, v4
	v_pk_add_f16 v4, v15, v5
	v_mul_f16_e32 v141, 0xbbdd, v51
	v_add_f16_e32 v6, v16, v6
	v_sub_f16_e32 v5, v92, v84
	v_bfi_b32 v15, 0xffff, v114, v134
	v_pk_add_f16 v2, v3, v2
	v_pk_add_f16 v3, v17, v4
	v_bfi_b32 v16, 0xffff, v118, v138
	v_add_f16_e32 v4, v5, v6
	v_sub_f16_e32 v5, v141, v104
	v_and_b32_e32 v6, 0xffff, v32
	v_pk_add_f16 v0, v0, v2
	v_pk_add_f16 v2, v15, v3
	v_pk_mul_f16 v3, 0xb1e1, v26 op_sel_hi:[0,1]
	v_add_f16_e32 v4, v5, v4
	v_add_lshl_u32 v5, v23, v6, 2
	v_pk_add_f16 v0, v1, v0
	v_pk_add_f16 v1, v16, v2
	v_pk_fma_f16 v2, 0xbbdd, v25, v3 op_sel:[0,0,1] op_sel_hi:[0,1,0] neg_lo:[0,0,1] neg_hi:[0,0,1]
	v_pk_fma_f16 v3, 0xbbdd, v25, v3 op_sel:[0,0,1] op_sel_hi:[0,1,0]
	v_pk_mul_f16 v6, 0x35c8, v38 op_sel_hi:[0,1]
	v_pk_add_f16 v0, v24, v0
	v_alignbit_b32 v7, v7, v1, 16
	v_pack_b32_f16 v1, v4, v1
	v_bfi_b32 v4, 0xffff, v2, v3
	v_pk_fma_f16 v15, 0x3b76, v31, v6 op_sel_hi:[0,1,1] neg_lo:[0,0,1] neg_hi:[0,0,1]
	v_pk_fma_f16 v6, 0x3b76, v31, v6 op_sel_hi:[0,1,1]
	v_pk_mul_f16 v16, 0xb836, v39 op_sel_hi:[0,1]
	ds_write_b32 v5, v0
	ds_write2_b32 v5, v1, v7 offset0:1 offset1:2
	v_pk_add_f16 v0, v4, v120 op_sel:[0,1] op_sel_hi:[1,0]
	v_mul_f16_e32 v149, 0x39e9, v40
	v_alignbit_b32 v1, v6, v15, 16
	v_pk_fma_f16 v4, 0xbacd, v40, v16 op_sel:[0,0,1] op_sel_hi:[0,1,0] neg_lo:[0,0,1] neg_hi:[0,0,1]
	v_pk_fma_f16 v7, 0xbacd, v40, v16 op_sel:[0,0,1] op_sel_hi:[0,1,0]
	v_pk_mul_f16 v16, 0x3964, v42 op_sel_hi:[0,1]
	v_mul_f16_e32 v162, 0x3722, v41
	v_pk_add_f16 v0, v1, v0
	v_bfi_b32 v1, 0xffff, v3, v2
	v_sub_f16_e32 v125, v149, v125
	v_bfi_b32 v2, 0xffff, v4, v7
	v_pk_fma_f16 v3, 0x39e9, v41, v16 op_sel:[0,0,1] op_sel_hi:[0,1,0] neg_lo:[0,0,1] neg_hi:[0,0,1]
	v_pk_fma_f16 v16, 0x39e9, v41, v16 op_sel:[0,0,1] op_sel_hi:[0,1,0]
	v_pk_mul_f16 v18, 0xba62, v44 op_sel_hi:[0,1]
	v_pk_add_f16 v1, v1, v120 op_sel:[0,1] op_sel_hi:[1,0]
	v_alignbit_b32 v6, v15, v6, 16
	v_mul_f16_e32 v170, 0xbbdd, v43
	v_add_f16_e32 v95, v125, v99
	v_sub_f16_e32 v99, v162, v126
	v_pk_add_f16 v0, v2, v0
	v_bfi_b32 v2, 0xffff, v3, v16
	v_pk_fma_f16 v15, 0xb8d2, v43, v18 op_sel:[0,0,1] op_sel_hi:[0,1,0] neg_lo:[0,0,1] neg_hi:[0,0,1]
	v_pk_fma_f16 v18, 0xb8d2, v43, v18 op_sel:[0,0,1] op_sel_hi:[0,1,0]
	v_pk_add_f16 v1, v6, v1
	v_bfi_b32 v4, 0xffff, v7, v4
	v_mul_f16_e32 v185, 0x2de8, v45
	v_mul_f16_e32 v155, 0x2de8, v155
	v_add_f16_e32 v95, v99, v95
	v_sub_f16_e32 v99, v170, v139
	v_pk_mul_f16 v7, 0x3b29, v46 op_sel_hi:[0,1]
	v_pk_add_f16 v0, v2, v0
	v_bfi_b32 v2, 0xffff, v15, v18
	v_pk_add_f16 v1, v4, v1
	v_bfi_b32 v3, 0xffff, v16, v3
	v_mul_f16_e32 v90, 0x3b76, v48
	v_mul_f16_e32 v157, 0x3b76, v157
	v_add_f16_e32 v150, v150, v155
	v_add_f16_e32 v95, v99, v95
	v_sub_f16_e32 v99, v185, v142
	v_pack_b32_f16 v6, v13, v50
	v_pk_fma_f16 v4, 0x3722, v45, v7 op_sel:[0,0,1] op_sel_hi:[0,1,0] neg_lo:[0,0,1] neg_hi:[0,0,1]
	v_pk_fma_f16 v7, 0x3722, v45, v7 op_sel:[0,0,1] op_sel_hi:[0,1,0]
	v_pk_mul_f16 v13, 0xbbb2, v49 op_sel_hi:[0,1]
	v_pk_add_f16 v0, v2, v0
	v_pk_add_f16 v1, v3, v1
	v_bfi_b32 v2, 0xffff, v18, v15
	v_mul_f16_e32 v149, 0xb8d2, v51
	v_mul_f16_e32 v168, 0xb8d2, v168
	v_add_f16_e32 v123, v150, v123
	v_add_f16_e32 v125, v160, v157
	;; [unrolled: 1-line block ×3, first 2 shown]
	v_sub_f16_e32 v90, v90, v154
	v_bfi_b32 v3, 0xffff, v4, v7
	v_pk_fma_f16 v15, 0xb461, v48, v13 op_sel:[0,0,1] op_sel_hi:[0,1,0] neg_lo:[0,0,1] neg_hi:[0,0,1]
	v_pk_fma_f16 v13, 0xb461, v48, v13 op_sel:[0,0,1] op_sel_hi:[0,1,0]
	v_pk_mul_f16 v16, 0x3bf7, v53 op_sel_hi:[0,1]
	v_pk_add_f16 v1, v2, v1
	v_bfi_b32 v2, 0xffff, v7, v4
	v_add_f16_e32 v123, v125, v123
	v_add_f16_e32 v125, v167, v168
	;; [unrolled: 1-line block ×3, first 2 shown]
	v_sub_f16_e32 v95, v149, v165
	v_pk_add_f16 v0, v3, v0
	v_bfi_b32 v3, 0xffff, v15, v13
	v_pk_fma_f16 v4, 0x2de8, v51, v16 op_sel:[0,0,1] op_sel_hi:[0,1,0] neg_lo:[0,0,1] neg_hi:[0,0,1]
	v_pk_fma_f16 v7, 0x2de8, v51, v16 op_sel:[0,0,1] op_sel_hi:[0,1,0]
	v_pk_add_f16 v1, v2, v1
	v_bfi_b32 v2, 0xffff, v13, v15
	v_add_f16_e32 v102, v125, v123
	v_add_f16_e32 v90, v95, v90
	v_pk_add_f16 v0, v3, v0
	v_bfi_b32 v3, 0xffff, v4, v7
	v_pk_add_f16 v1, v2, v1
	v_bfi_b32 v2, 0xffff, v7, v4
	v_pack_b32_f16 v17, v52, v57
	v_pack_b32_f16 v13, v68, v89
	;; [unrolled: 1-line block ×3, first 2 shown]
	v_pk_add_f16 v0, v3, v0
	v_pack_b32_f16 v3, v107, v111
	v_pk_add_f16 v1, v2, v1
	v_perm_b32 v2, v64, v21, 0x5040100
	ds_write2_b32 v5, v6, v17 offset0:3 offset1:4
	ds_write2_b32 v5, v15, v13 offset0:5 offset1:6
	v_perm_b32 v4, v37, v14, 0x5040100
	v_perm_b32 v6, v67, v22, 0x5040100
	;; [unrolled: 1-line block ×6, first 2 shown]
	ds_write2_b32 v5, v3, v0 offset0:7 offset1:8
	ds_write2_b32 v5, v1, v2 offset0:9 offset1:10
	;; [unrolled: 1-line block ×5, first 2 shown]
.LBB0_7:
	s_or_b32 exec_lo, exec_lo, s0
	v_add_lshl_u32 v38, v23, v29, 2
	s_waitcnt lgkmcnt(0)
	s_barrier
	buffer_gl0_inv
	v_cmp_gt_u16_e64 s0, 17, v29
	v_add_nc_u32_e32 v6, 0x400, v38
	ds_read2_b32 v[4:5], v38 offset1:34
	ds_read2_b32 v[0:1], v38 offset0:136 offset1:187
	ds_read2_b32 v[15:16], v38 offset0:221 offset1:255
	;; [unrolled: 1-line block ×4, first 2 shown]
	s_and_saveexec_b32 s1, s0
	s_cbranch_execz .LBB0_9
; %bb.8:
	v_add_nc_u32_e32 v13, 0x200, v38
	ds_read2_b32 v[21:22], v13 offset0:42 offset1:229
	s_waitcnt lgkmcnt(0)
	v_lshrrev_b32_e32 v64, 16, v21
	v_lshrrev_b32_e32 v67, 16, v22
.LBB0_9:
	s_or_b32 exec_lo, exec_lo, s1
	v_add_co_u32 v13, s1, 0xffffffef, v29
	v_add_co_ci_u32_e64 v17, null, 0, -1, s1
	v_add_nc_u16 v20, v29, 34
	v_add_nc_u16 v26, v29, 0x88
	;; [unrolled: 1-line block ×3, first 2 shown]
	v_cndmask_b32_e64 v18, v17, 0, s0
	v_cndmask_b32_e64 v17, v13, v29, s0
	v_add_nc_u16 v13, v29, 0x44
	v_and_b32_e32 v24, 0xff, v20
	v_and_b32_e32 v40, 0xff, v26
	v_add_nc_u16 v41, v29, 0xaa
	v_lshlrev_b64 v[18:19], 2, v[17:18]
	v_and_b32_e32 v31, 0xff, v13
	v_mul_lo_u16 v24, 0xf1, v24
	v_and_b32_e32 v39, 0xff, v25
	v_mul_lo_u16 v40, 0xf1, v40
	v_and_b32_e32 v43, 0xff, v41
	v_mul_lo_u16 v31, 0xf1, v31
	v_lshrrev_b16 v24, 12, v24
	v_add_co_u32 v18, s1, s2, v18
	v_add_co_ci_u32_e64 v19, s1, s3, v19, s1
	v_mul_lo_u16 v39, 0xf1, v39
	v_mul_lo_u16 v42, v24, 17
	v_lshrrev_b16 v31, 12, v31
	v_lshrrev_b16 v47, 12, v40
	v_mul_lo_u16 v40, 0xf1, v43
	v_lshrrev_b16 v46, 12, v39
	v_sub_nc_u16 v20, v20, v42
	v_mul_lo_u16 v39, v31, 17
	global_load_dword v43, v[18:19], off
	v_mul_lo_u16 v18, v47, 17
	v_mov_b32_e32 v19, 2
	v_lshrrev_b16 v40, 12, v40
	v_sub_nc_u16 v13, v13, v39
	v_mul_lo_u16 v42, v46, 17
	v_sub_nc_u16 v18, v26, v18
	v_lshlrev_b32_sdwa v26, v19, v20 dst_sel:DWORD dst_unused:UNUSED_PAD src0_sel:DWORD src1_sel:BYTE_0
	v_mul_lo_u16 v39, v40, 17
	v_lshlrev_b32_sdwa v40, v19, v13 dst_sel:DWORD dst_unused:UNUSED_PAD src0_sel:DWORD src1_sel:BYTE_0
	v_sub_nc_u16 v25, v25, v42
	v_mov_b32_e32 v48, 34
	global_load_dword v45, v26, s[2:3]
	v_sub_nc_u16 v26, v41, v39
	v_cmp_lt_u16_e64 s1, 16, v29
	v_lshlrev_b32_sdwa v42, v19, v25 dst_sel:DWORD dst_unused:UNUSED_PAD src0_sel:DWORD src1_sel:BYTE_0
	v_lshlrev_b32_sdwa v19, v19, v18 dst_sel:DWORD dst_unused:UNUSED_PAD src0_sel:DWORD src1_sel:BYTE_0
	s_clause 0x2
	global_load_dword v44, v40, s[2:3]
	global_load_dword v42, v42, s[2:3]
	;; [unrolled: 1-line block ×3, first 2 shown]
	v_and_b32_e32 v39, 0xff, v26
	v_mul_u32_u24_sdwa v31, v31, v48 dst_sel:DWORD dst_unused:UNUSED_PAD src0_sel:WORD_0 src1_sel:DWORD
	s_waitcnt lgkmcnt(3)
	v_lshrrev_b32_e32 v26, 16, v1
	v_cndmask_b32_e64 v49, 0, 34, s1
	v_mul_u32_u24_sdwa v47, v47, v48 dst_sel:DWORD dst_unused:UNUSED_PAD src0_sel:WORD_0 src1_sel:DWORD
	v_lshlrev_b32_e32 v19, 2, v39
	v_add_nc_u32_sdwa v13, v31, v13 dst_sel:DWORD dst_unused:UNUSED_PAD src0_sel:DWORD src1_sel:BYTE_0
	v_mad_u16 v20, v24, 34, v20
	v_add_nc_u32_e32 v17, v17, v49
	v_mul_u32_u24_sdwa v49, v46, v48 dst_sel:DWORD dst_unused:UNUSED_PAD src0_sel:WORD_0 src1_sel:DWORD
	global_load_dword v40, v19, s[2:3]
	v_add_nc_u32_sdwa v18, v47, v18 dst_sel:DWORD dst_unused:UNUSED_PAD src0_sel:DWORD src1_sel:BYTE_0
	v_add_lshl_u32 v47, v23, v13, 2
	v_lshrrev_b32_e32 v19, 16, v4
	s_waitcnt lgkmcnt(2)
	v_lshrrev_b32_e32 v52, 16, v15
	v_add_lshl_u32 v46, v23, v17, 2
	v_add_nc_u32_sdwa v17, v49, v25 dst_sel:DWORD dst_unused:UNUSED_PAD src0_sel:DWORD src1_sel:BYTE_0
	v_lshrrev_b32_e32 v54, 16, v16
	v_and_b32_e32 v20, 0xff, v20
	s_waitcnt lgkmcnt(0)
	v_lshrrev_b32_e32 v56, 16, v6
	v_lshrrev_b32_e32 v58, 16, v7
	v_add_lshl_u32 v48, v23, v17, 2
	v_add_lshl_u32 v49, v23, v18, 2
	v_add_lshl_u32 v50, v23, v20, 2
	s_load_dwordx4 s[4:7], s[6:7], 0x0
	v_lshrrev_b32_e32 v51, 16, v5
	v_lshrrev_b32_e32 v53, 16, v2
	;; [unrolled: 1-line block ×4, first 2 shown]
	s_waitcnt vmcnt(0) lgkmcnt(0)
	s_barrier
	buffer_gl0_inv
	v_mul_f16_sdwa v13, v26, v43 dst_sel:DWORD dst_unused:UNUSED_PAD src0_sel:DWORD src1_sel:WORD_1
	v_mul_f16_sdwa v24, v1, v43 dst_sel:DWORD dst_unused:UNUSED_PAD src0_sel:DWORD src1_sel:WORD_1
	v_fma_f16 v1, v1, v43, -v13
	v_fmac_f16_e32 v24, v26, v43
	v_sub_f16_e32 v1, v4, v1
	v_sub_f16_e32 v13, v19, v24
	v_mul_f16_sdwa v17, v52, v45 dst_sel:DWORD dst_unused:UNUSED_PAD src0_sel:DWORD src1_sel:WORD_1
	v_mul_f16_sdwa v18, v15, v45 dst_sel:DWORD dst_unused:UNUSED_PAD src0_sel:DWORD src1_sel:WORD_1
	v_fma_f16 v4, v4, 2.0, -v1
	v_fma_f16 v19, v19, 2.0, -v13
	v_mul_f16_sdwa v20, v54, v44 dst_sel:DWORD dst_unused:UNUSED_PAD src0_sel:DWORD src1_sel:WORD_1
	v_mul_f16_sdwa v24, v16, v44 dst_sel:DWORD dst_unused:UNUSED_PAD src0_sel:DWORD src1_sel:WORD_1
	;; [unrolled: 1-line block ×6, first 2 shown]
	v_pack_b32_f16 v1, v1, v13
	v_fma_f16 v13, v15, v45, -v17
	v_fmac_f16_e32 v18, v52, v45
	v_fma_f16 v15, v16, v44, -v20
	v_fmac_f16_e32 v24, v54, v44
	v_fma_f16 v6, v6, v42, -v25
	v_fmac_f16_e32 v26, v56, v42
	v_mul_f16_sdwa v16, v67, v40 dst_sel:DWORD dst_unused:UNUSED_PAD src0_sel:DWORD src1_sel:WORD_1
	v_fma_f16 v7, v7, v41, -v31
	v_fmac_f16_e32 v59, v58, v41
	v_mul_f16_sdwa v17, v22, v40 dst_sel:DWORD dst_unused:UNUSED_PAD src0_sel:DWORD src1_sel:WORD_1
	v_pack_b32_f16 v4, v4, v19
	v_sub_f16_e32 v19, v5, v13
	v_sub_f16_e32 v18, v51, v18
	;; [unrolled: 1-line block ×4, first 2 shown]
	v_fma_f16 v16, v22, v40, -v16
	v_sub_f16_e32 v6, v3, v6
	v_sub_f16_e32 v22, v55, v26
	;; [unrolled: 1-line block ×4, first 2 shown]
	v_fmac_f16_e32 v17, v67, v40
	ds_write2_b32 v46, v4, v1 offset1:17
	v_fma_f16 v1, v5, 2.0, -v19
	v_fma_f16 v4, v51, 2.0, -v18
	;; [unrolled: 1-line block ×8, first 2 shown]
	v_sub_f16_e32 v13, v21, v16
	v_pack_b32_f16 v16, v19, v18
	v_pack_b32_f16 v1, v1, v4
	v_sub_f16_e32 v51, v64, v17
	v_pack_b32_f16 v15, v15, v20
	v_pack_b32_f16 v2, v2, v5
	v_pack_b32_f16 v6, v6, v22
	v_pack_b32_f16 v3, v3, v25
	v_pack_b32_f16 v7, v7, v24
	v_pack_b32_f16 v0, v0, v26
	ds_write2_b32 v50, v1, v16 offset1:17
	ds_write2_b32 v47, v2, v15 offset1:17
	;; [unrolled: 1-line block ×4, first 2 shown]
	s_and_saveexec_b32 s1, s0
	s_cbranch_execz .LBB0_11
; %bb.10:
	v_fma_f16 v0, v21, 2.0, -v13
	v_fma_f16 v1, v64, 2.0, -v51
	v_add_lshl_u32 v2, v23, v39, 2
	v_perm_b32 v3, v51, v13, 0x5040100
	v_pack_b32_f16 v0, v0, v1
	v_add_nc_u32_e32 v1, 0x400, v2
	ds_write2_b32 v1, v0, v3 offset0:84 offset1:101
.LBB0_11:
	s_or_b32 exec_lo, exec_lo, s1
	v_mad_u64_u32 v[15:16], null, v29, 40, s[2:3]
	s_waitcnt lgkmcnt(0)
	s_barrier
	buffer_gl0_inv
	v_add_nc_u32_e32 v23, 0x200, v38
	v_add_nc_u32_e32 v25, 0x400, v38
	v_lshl_add_u32 v31, v29, 2, v30
	s_clause 0x2
	global_load_dwordx4 v[4:7], v[15:16], off offset:68
	global_load_dwordx4 v[0:3], v[15:16], off offset:84
	global_load_dwordx2 v[15:16], v[15:16], off offset:100
	ds_read2_b32 v[17:18], v38 offset1:34
	ds_read2_b32 v[19:20], v38 offset0:68 offset1:102
	ds_read_b32 v52, v38 offset:544
	ds_read2_b32 v[21:22], v38 offset0:170 offset1:204
	ds_read2_b32 v[23:24], v23 offset0:110 offset1:144
	;; [unrolled: 1-line block ×3, first 2 shown]
	v_add_nc_u32_e32 v64, 0x200, v31
	v_add_nc_u32_e32 v65, 0x400, v31
	s_waitcnt lgkmcnt(5)
	v_lshrrev_b32_e32 v53, 16, v18
	s_waitcnt lgkmcnt(4)
	v_lshrrev_b32_e32 v54, 16, v19
	v_lshrrev_b32_e32 v55, 16, v20
	s_waitcnt lgkmcnt(0)
	v_lshrrev_b32_e32 v61, 16, v25
	v_lshrrev_b32_e32 v62, 16, v26
	;; [unrolled: 1-line block ×7, first 2 shown]
	s_waitcnt vmcnt(2)
	v_mul_f16_sdwa v63, v53, v4 dst_sel:DWORD dst_unused:UNUSED_PAD src0_sel:DWORD src1_sel:WORD_1
	v_mul_f16_sdwa v66, v18, v4 dst_sel:DWORD dst_unused:UNUSED_PAD src0_sel:DWORD src1_sel:WORD_1
	;; [unrolled: 1-line block ×4, first 2 shown]
	s_waitcnt vmcnt(0)
	v_mul_f16_sdwa v81, v61, v15 dst_sel:DWORD dst_unused:UNUSED_PAD src0_sel:DWORD src1_sel:WORD_1
	v_mul_f16_sdwa v83, v62, v16 dst_sel:DWORD dst_unused:UNUSED_PAD src0_sel:DWORD src1_sel:WORD_1
	;; [unrolled: 1-line block ×3, first 2 shown]
	v_fma_f16 v18, v18, v4, -v63
	v_fmac_f16_e32 v66, v53, v4
	v_mul_f16_sdwa v69, v55, v6 dst_sel:DWORD dst_unused:UNUSED_PAD src0_sel:DWORD src1_sel:WORD_1
	v_mul_f16_sdwa v70, v20, v6 dst_sel:DWORD dst_unused:UNUSED_PAD src0_sel:DWORD src1_sel:WORD_1
	;; [unrolled: 1-line block ×13, first 2 shown]
	v_fma_f16 v19, v19, v5, -v67
	v_fmac_f16_e32 v68, v54, v5
	v_fma_f16 v53, v25, v15, -v81
	v_fma_f16 v67, v26, v16, -v83
	v_fmac_f16_e32 v84, v62, v16
	v_add_f16_e32 v25, v17, v18
	v_add_f16_sdwa v26, v17, v66 dst_sel:DWORD dst_unused:UNUSED_PAD src0_sel:WORD_1 src1_sel:DWORD
	v_fma_f16 v20, v20, v6, -v69
	v_fmac_f16_e32 v70, v55, v6
	v_fma_f16 v52, v52, v7, -v71
	v_fmac_f16_e32 v72, v56, v7
	;; [unrolled: 2-line block ×6, first 2 shown]
	v_fmac_f16_e32 v82, v61, v15
	v_add_f16_e32 v54, v18, v67
	v_sub_f16_e32 v18, v18, v67
	v_sub_f16_e32 v56, v66, v84
	v_add_f16_e32 v57, v19, v53
	v_sub_f16_e32 v59, v19, v53
	v_add_f16_e32 v19, v25, v19
	v_add_f16_e32 v25, v26, v68
	;; [unrolled: 1-line block ×4, first 2 shown]
	v_sub_f16_e32 v60, v68, v82
	v_add_f16_e32 v61, v20, v24
	v_sub_f16_e32 v63, v20, v24
	v_sub_f16_e32 v66, v70, v80
	;; [unrolled: 1-line block ×6, first 2 shown]
	v_mul_f16_e32 v26, 0xb853, v56
	v_mul_f16_e32 v68, 0xb853, v18
	;; [unrolled: 1-line block ×10, first 2 shown]
	v_add_f16_e32 v19, v19, v20
	v_add_f16_e32 v20, v25, v70
	;; [unrolled: 1-line block ×7, first 2 shown]
	v_mul_f16_e32 v91, 0xbb47, v60
	v_mul_f16_e32 v92, 0xbb47, v59
	;; [unrolled: 1-line block ×40, first 2 shown]
	v_fma_f16 v25, v54, 0x3abb, -v26
	v_fmamk_f16 v70, v55, 0x3abb, v68
	v_fmac_f16_e32 v26, 0x3abb, v54
	v_fma_f16 v68, v55, 0x3abb, -v68
	v_fma_f16 v123, v54, 0x36a6, -v85
	v_fmamk_f16 v124, v55, 0x36a6, v86
	v_fmac_f16_e32 v85, 0x36a6, v54
	v_fma_f16 v86, v55, 0x36a6, -v86
	;; [unrolled: 4-line block ×5, first 2 shown]
	v_add_f16_e32 v19, v19, v52
	v_add_f16_e32 v20, v20, v72
	v_fma_f16 v54, v57, 0x36a6, -v91
	v_fmamk_f16 v55, v58, 0x36a6, v92
	v_fmac_f16_e32 v91, 0x36a6, v57
	v_fma_f16 v92, v58, 0x36a6, -v92
	v_fma_f16 v131, v57, 0xb93d, -v93
	v_fmamk_f16 v132, v58, 0xb93d, v94
	v_fmac_f16_e32 v93, 0xb93d, v57
	v_fma_f16 v94, v58, 0xb93d, -v94
	;; [unrolled: 4-line block ×20, first 2 shown]
	v_add_f16_e32 v25, v17, v25
	v_add_f16_sdwa v52, v17, v70 dst_sel:DWORD dst_unused:UNUSED_PAD src0_sel:WORD_1 src1_sel:DWORD
	v_add_f16_e32 v26, v17, v26
	v_add_f16_sdwa v68, v17, v68 dst_sel:DWORD dst_unused:UNUSED_PAD src0_sel:WORD_1 src1_sel:DWORD
	;; [unrolled: 2-line block ×10, first 2 shown]
	v_add_f16_e32 v18, v19, v21
	v_add_f16_e32 v19, v20, v74
	;; [unrolled: 1-line block ×92, first 2 shown]
	v_pack_b32_f16 v72, v52, v53
	v_pack_b32_f16 v66, v19, v63
	;; [unrolled: 1-line block ×11, first 2 shown]
	ds_write_b32 v31, v72
	ds_write2_b32 v31, v66, v68 offset0:34 offset1:68
	ds_write2_b32 v31, v67, v69 offset0:102 offset1:136
	;; [unrolled: 1-line block ×5, first 2 shown]
	s_waitcnt lgkmcnt(0)
	s_barrier
	buffer_gl0_inv
	s_and_saveexec_b32 s1, vcc_lo
	s_cbranch_execz .LBB0_13
; %bb.12:
	global_load_dword v66, v28, s[12:13] offset:1496
	s_add_u32 s2, s12, 0x5d8
	s_addc_u32 s3, s13, 0
	s_clause 0xf
	global_load_dword v82, v28, s[2:3] offset:88
	global_load_dword v83, v28, s[2:3] offset:176
	;; [unrolled: 1-line block ×16, first 2 shown]
	ds_read_b32 v67, v31
	s_waitcnt lgkmcnt(0)
	v_lshrrev_b32_e32 v68, 16, v67
	s_waitcnt vmcnt(16)
	v_mul_f16_sdwa v69, v68, v66 dst_sel:DWORD dst_unused:UNUSED_PAD src0_sel:DWORD src1_sel:WORD_1
	v_mul_f16_sdwa v70, v67, v66 dst_sel:DWORD dst_unused:UNUSED_PAD src0_sel:DWORD src1_sel:WORD_1
	v_fma_f16 v67, v67, v66, -v69
	v_fmac_f16_e32 v70, v68, v66
	v_pack_b32_f16 v66, v67, v70
	ds_write_b32 v31, v66
	ds_read2_b32 v[66:67], v31 offset0:22 offset1:44
	ds_read2_b32 v[68:69], v31 offset0:66 offset1:88
	;; [unrolled: 1-line block ×8, first 2 shown]
	s_waitcnt lgkmcnt(7)
	v_lshrrev_b32_e32 v98, 16, v66
	s_waitcnt vmcnt(15)
	v_mul_f16_sdwa v99, v66, v82 dst_sel:DWORD dst_unused:UNUSED_PAD src0_sel:DWORD src1_sel:WORD_1
	v_lshrrev_b32_e32 v100, 16, v67
	s_waitcnt vmcnt(14)
	v_mul_f16_sdwa v101, v67, v83 dst_sel:DWORD dst_unused:UNUSED_PAD src0_sel:DWORD src1_sel:WORD_1
	s_waitcnt lgkmcnt(6)
	v_lshrrev_b32_e32 v102, 16, v68
	s_waitcnt vmcnt(13)
	v_mul_f16_sdwa v103, v68, v84 dst_sel:DWORD dst_unused:UNUSED_PAD src0_sel:DWORD src1_sel:WORD_1
	v_lshrrev_b32_e32 v104, 16, v69
	s_waitcnt vmcnt(12)
	v_mul_f16_sdwa v105, v69, v85 dst_sel:DWORD dst_unused:UNUSED_PAD src0_sel:DWORD src1_sel:WORD_1
	;; [unrolled: 7-line block ×7, first 2 shown]
	s_waitcnt lgkmcnt(0)
	v_lshrrev_b32_e32 v126, 16, v80
	s_waitcnt vmcnt(1)
	v_mul_f16_sdwa v127, v80, v96 dst_sel:DWORD dst_unused:UNUSED_PAD src0_sel:DWORD src1_sel:WORD_1
	v_lshrrev_b32_e32 v128, 16, v81
	v_mul_f16_sdwa v130, v98, v82 dst_sel:DWORD dst_unused:UNUSED_PAD src0_sel:DWORD src1_sel:WORD_1
	v_fmac_f16_e32 v99, v98, v82
	v_mul_f16_sdwa v98, v100, v83 dst_sel:DWORD dst_unused:UNUSED_PAD src0_sel:DWORD src1_sel:WORD_1
	v_fmac_f16_e32 v101, v100, v83
	;; [unrolled: 2-line block ×9, first 2 shown]
	v_mul_f16_sdwa v114, v116, v91 dst_sel:DWORD dst_unused:UNUSED_PAD src0_sel:DWORD src1_sel:WORD_1
	s_waitcnt vmcnt(0)
	v_mul_f16_sdwa v129, v81, v97 dst_sel:DWORD dst_unused:UNUSED_PAD src0_sel:DWORD src1_sel:WORD_1
	v_fmac_f16_e32 v117, v116, v91
	v_mul_f16_sdwa v116, v118, v92 dst_sel:DWORD dst_unused:UNUSED_PAD src0_sel:DWORD src1_sel:WORD_1
	v_fmac_f16_e32 v119, v118, v92
	;; [unrolled: 2-line block ×6, first 2 shown]
	v_mul_f16_sdwa v126, v128, v97 dst_sel:DWORD dst_unused:UNUSED_PAD src0_sel:DWORD src1_sel:WORD_1
	v_fma_f16 v66, v66, v82, -v130
	v_fma_f16 v67, v67, v83, -v98
	;; [unrolled: 1-line block ×10, first 2 shown]
	v_fmac_f16_e32 v129, v128, v97
	v_fma_f16 v76, v76, v92, -v116
	v_fma_f16 v77, v77, v93, -v118
	v_fma_f16 v78, v78, v94, -v120
	v_fma_f16 v79, v79, v95, -v122
	v_fma_f16 v80, v80, v96, -v124
	v_fma_f16 v81, v81, v97, -v126
	v_pack_b32_f16 v66, v66, v99
	v_pack_b32_f16 v67, v67, v101
	;; [unrolled: 1-line block ×16, first 2 shown]
	ds_write2_b32 v31, v66, v67 offset0:22 offset1:44
	ds_write2_b32 v31, v68, v69 offset0:66 offset1:88
	;; [unrolled: 1-line block ×8, first 2 shown]
.LBB0_13:
	s_or_b32 exec_lo, exec_lo, s1
	s_waitcnt lgkmcnt(0)
	s_barrier
	buffer_gl0_inv
	s_and_saveexec_b32 s1, vcc_lo
	s_cbranch_execz .LBB0_15
; %bb.14:
	v_add_nc_u32_e32 v9, 0x200, v31
	v_add_nc_u32_e32 v11, 0x400, v31
	ds_read_b32 v52, v31
	ds_read2_b32 v[19:20], v31 offset0:22 offset1:44
	ds_read2_b32 v[21:22], v31 offset0:66 offset1:88
	;; [unrolled: 1-line block ×8, first 2 shown]
	s_waitcnt lgkmcnt(8)
	v_lshrrev_b32_e32 v53, 16, v52
	s_waitcnt lgkmcnt(7)
	v_lshrrev_b32_e32 v63, 16, v19
	v_lshrrev_b32_e32 v62, 16, v20
	s_waitcnt lgkmcnt(6)
	v_lshrrev_b32_e32 v61, 16, v21
	;; [unrolled: 3-line block ×8, first 2 shown]
	v_lshrrev_b32_e32 v36, 16, v12
.LBB0_15:
	s_or_b32 exec_lo, exec_lo, s1
	v_sub_f16_e32 v85, v63, v36
	v_add_f16_e32 v94, v36, v63
	v_add_f16_e32 v68, v12, v19
	v_sub_f16_e32 v70, v19, v12
	v_add_f16_e32 v96, v33, v62
	v_mul_f16_e32 v98, 0xba62, v85
	v_mul_f16_e32 v95, 0xb8d2, v94
	v_sub_f16_e32 v87, v62, v33
	v_add_f16_e32 v69, v11, v20
	v_mul_f16_e32 v91, 0xb836, v85
	v_fma_f16 v64, v68, 0xb8d2, -v98
	v_fmamk_f16 v65, v70, 0xba62, v95
	v_mul_f16_e32 v88, 0xbacd, v94
	v_mul_f16_e32 v103, 0x3bb2, v87
	v_sub_f16_e32 v72, v20, v11
	v_mul_f16_e32 v109, 0xb461, v96
	v_add_f16_e32 v64, v52, v64
	v_add_f16_e32 v65, v53, v65
	v_fma_f16 v66, v68, 0xbacd, -v91
	v_fmamk_f16 v67, v70, 0xb836, v88
	v_fma_f16 v71, v69, 0xb461, -v103
	v_sub_f16_e32 v89, v61, v34
	v_fmamk_f16 v73, v72, 0x3bb2, v109
	v_mul_f16_e32 v113, 0x3b29, v87
	v_mul_f16_e32 v119, 0x3722, v96
	v_add_f16_e32 v100, v34, v61
	v_add_f16_e32 v66, v52, v66
	;; [unrolled: 1-line block ×5, first 2 shown]
	v_mul_f16_e32 v107, 0xb5c8, v89
	v_add_f16_e32 v65, v73, v65
	v_fma_f16 v74, v69, 0x3722, -v113
	v_fmamk_f16 v75, v72, 0x3b29, v119
	v_sub_f16_e32 v73, v21, v10
	v_mul_f16_e32 v111, 0x3b76, v100
	v_sub_f16_e32 v90, v60, v35
	v_fma_f16 v76, v71, 0x3b76, -v107
	v_add_f16_e32 v66, v74, v66
	v_add_f16_e32 v67, v75, v67
	v_fmamk_f16 v75, v73, 0xb5c8, v111
	v_mul_f16_e32 v118, 0xbbf7, v89
	v_mul_f16_e32 v121, 0x2de8, v100
	v_add_f16_e32 v74, v9, v22
	v_mul_f16_e32 v108, 0xb836, v90
	v_add_f16_e32 v102, v35, v60
	v_add_f16_e32 v64, v76, v64
	;; [unrolled: 1-line block ×3, first 2 shown]
	v_fma_f16 v76, v71, 0x2de8, -v118
	v_fmamk_f16 v77, v73, 0xbbf7, v121
	v_fma_f16 v78, v74, 0xbacd, -v108
	v_sub_f16_e32 v75, v22, v9
	v_mul_f16_e32 v114, 0xbacd, v102
	v_sub_f16_e32 v92, v59, v37
	v_mul_f16_e32 v122, 0x3a62, v90
	v_mul_f16_e32 v126, 0xb8d2, v102
	v_add_f16_e32 v106, v37, v59
	v_add_f16_e32 v66, v76, v66
	;; [unrolled: 1-line block ×4, first 2 shown]
	v_fmamk_f16 v78, v75, 0xb836, v114
	v_add_f16_e32 v76, v14, v23
	v_mul_f16_e32 v110, 0x3bf7, v92
	v_fma_f16 v79, v74, 0xb8d2, -v122
	v_fmamk_f16 v80, v75, 0x3a62, v126
	v_sub_f16_e32 v77, v23, v14
	v_mul_f16_e32 v116, 0x2de8, v106
	v_add_f16_e32 v101, v51, v58
	v_fma_f16 v81, v76, 0x2de8, -v110
	v_add_f16_e32 v65, v78, v65
	v_add_f16_e32 v66, v79, v66
	;; [unrolled: 1-line block ×3, first 2 shown]
	v_fmamk_f16 v80, v77, 0x3bf7, v116
	v_sub_f16_e32 v93, v58, v51
	v_mul_f16_e32 v125, 0xb5c8, v92
	v_mul_f16_e32 v128, 0x3b76, v106
	v_sub_f16_e32 v79, v24, v13
	v_mul_f16_e32 v120, 0x39e9, v101
	v_add_f16_e32 v64, v81, v64
	v_add_f16_e32 v78, v13, v24
	v_mul_f16_e32 v112, 0xb964, v93
	v_fma_f16 v81, v76, 0x3b76, -v125
	v_fmamk_f16 v82, v77, 0xb5c8, v128
	v_add_f16_e32 v65, v80, v65
	v_fmamk_f16 v80, v79, 0xb964, v120
	v_mul_f16_e32 v127, 0xb1e1, v93
	v_sub_f16_e32 v97, v57, v54
	v_add_f16_e32 v104, v54, v57
	v_fma_f16 v83, v78, 0x39e9, -v112
	v_add_f16_e32 v66, v81, v66
	v_add_f16_e32 v67, v82, v67
	;; [unrolled: 1-line block ×3, first 2 shown]
	v_mul_f16_e32 v130, 0xbbdd, v101
	v_fma_f16 v82, v78, 0xbbdd, -v127
	v_add_f16_e32 v80, v18, v25
	v_mul_f16_e32 v115, 0xb1e1, v97
	v_sub_f16_e32 v81, v25, v18
	v_mul_f16_e32 v123, 0xbbdd, v104
	v_mul_f16_e32 v129, 0x3964, v97
	v_add_f16_e32 v64, v83, v64
	v_fmamk_f16 v83, v79, 0xb1e1, v130
	v_fma_f16 v84, v80, 0xbbdd, -v115
	v_add_f16_e32 v66, v82, v66
	v_fmamk_f16 v82, v81, 0xb1e1, v123
	v_fma_f16 v86, v80, 0x39e9, -v129
	v_mul_f16_e32 v132, 0x39e9, v104
	v_sub_f16_e32 v99, v56, v55
	v_add_f16_e32 v105, v55, v56
	v_add_f16_e32 v67, v83, v67
	;; [unrolled: 1-line block ×5, first 2 shown]
	v_fmamk_f16 v66, v81, 0x3964, v132
	v_add_f16_e32 v82, v17, v26
	v_sub_f16_e32 v83, v26, v17
	v_mul_f16_e32 v117, 0x3b29, v99
	v_mul_f16_e32 v124, 0x3722, v105
	;; [unrolled: 1-line block ×4, first 2 shown]
	v_add_f16_e32 v86, v66, v67
	v_fma_f16 v66, v82, 0x3722, -v117
	v_fmamk_f16 v67, v83, 0x3b29, v124
	v_fma_f16 v134, v82, 0xb461, -v131
	v_fmamk_f16 v135, v83, 0xbbb2, v133
	v_add_f16_e32 v66, v66, v64
	v_add_f16_e32 v67, v67, v65
	v_add_f16_e32 v64, v134, v84
	v_add_f16_e32 v65, v135, v86
	s_barrier
	buffer_gl0_inv
	s_and_saveexec_b32 s1, vcc_lo
	s_cbranch_execz .LBB0_17
; %bb.16:
	v_mul_f16_e32 v84, 0xb1e1, v70
	v_mul_f16_e32 v152, 0x35c8, v72
	v_mul_f16_e32 v157, 0xb836, v73
	v_mul_f16_e32 v161, 0x3964, v75
	v_mul_f16_e32 v165, 0xba62, v77
	v_fmamk_f16 v86, v94, 0xbbdd, v84
	v_fmamk_f16 v156, v96, 0x3b76, v152
	v_mul_f16_e32 v169, 0x3b29, v79
	v_mul_f16_e32 v173, 0xbbb2, v81
	v_fma_f16 v84, v94, 0xbbdd, -v84
	v_add_f16_e32 v86, v53, v86
	v_mul_f16_e32 v136, 0xbacd, v68
	v_mul_f16_e32 v168, 0xb1e1, v85
	;; [unrolled: 1-line block ×3, first 2 shown]
	v_add_f16_e32 v84, v53, v84
	v_add_f16_e32 v86, v156, v86
	v_fmamk_f16 v156, v100, 0xbacd, v157
	v_fma_f16 v152, v96, 0x3b76, -v152
	v_mul_f16_e32 v140, 0x3722, v69
	v_fma_f16 v171, v68, 0xbbdd, -v168
	v_mul_f16_e32 v172, 0x35c8, v87
	v_add_f16_e32 v86, v156, v86
	v_fmamk_f16 v156, v102, 0x39e9, v161
	v_fmamk_f16 v181, v105, 0x2de8, v179
	v_add_f16_e32 v152, v152, v84
	v_fma_f16 v157, v100, 0xbacd, -v157
	v_fmac_f16_e32 v168, 0xbbdd, v68
	v_add_f16_e32 v86, v156, v86
	v_fmamk_f16 v156, v106, 0xb8d2, v165
	v_add_f16_e32 v91, v136, v91
	v_mul_f16_e32 v144, 0x2de8, v71
	v_add_f16_e32 v171, v52, v171
	v_fma_f16 v174, v69, 0x3b76, -v172
	v_add_f16_e32 v86, v156, v86
	v_fmamk_f16 v156, v101, 0x3722, v169
	v_mul_f16_e32 v175, 0xb836, v89
	v_fmac_f16_e32 v172, 0x3b76, v69
	v_add_f16_e32 v91, v52, v91
	v_add_f16_e32 v113, v140, v113
	;; [unrolled: 1-line block ×3, first 2 shown]
	v_fmamk_f16 v156, v104, 0xb461, v173
	v_mul_f16_e32 v135, 0xba62, v70
	v_mul_f16_e32 v137, 0xb836, v70
	;; [unrolled: 1-line block ×3, first 2 shown]
	v_add_f16_e32 v171, v174, v171
	v_add_f16_e32 v86, v156, v86
	v_fma_f16 v174, v71, 0xbacd, -v175
	v_mul_f16_e32 v177, 0x3964, v90
	v_fmac_f16_e32 v175, 0xbacd, v71
	v_add_f16_e32 v113, v113, v91
	v_add_f16_e32 v84, v181, v86
	;; [unrolled: 1-line block ×3, first 2 shown]
	v_fma_f16 v152, v102, 0x39e9, -v161
	v_add_f16_e32 v161, v52, v168
	v_add_f16_e32 v118, v144, v118
	v_mul_f16_e32 v139, 0x3bb2, v72
	v_mul_f16_e32 v141, 0x3b29, v72
	;; [unrolled: 1-line block ×3, first 2 shown]
	v_add_f16_e32 v161, v172, v161
	v_add_f16_e32 v156, v174, v171
	v_fma_f16 v171, v74, 0x39e9, -v177
	v_fmac_f16_e32 v177, 0x39e9, v74
	v_sub_f16_e32 v88, v88, v137
	v_add_f16_e32 v161, v175, v161
	v_sub_f16_e32 v95, v95, v135
	v_add_f16_e32 v113, v118, v113
	v_add_f16_e32 v118, v148, v122
	v_mul_f16_e32 v143, 0xb5c8, v73
	v_mul_f16_e32 v145, 0xbbf7, v73
	;; [unrolled: 1-line block ×3, first 2 shown]
	v_add_f16_e32 v137, v177, v161
	v_add_f16_e32 v161, v53, v88
	v_sub_f16_e32 v119, v119, v141
	v_add_f16_e32 v95, v53, v95
	v_sub_f16_e32 v109, v109, v139
	v_add_f16_e32 v113, v118, v113
	v_add_f16_e32 v118, v153, v125
	v_mul_f16_e32 v134, 0xb8d2, v68
	v_mul_f16_e32 v147, 0xb836, v75
	;; [unrolled: 1-line block ×4, first 2 shown]
	v_add_f16_e32 v119, v119, v161
	v_sub_f16_e32 v121, v121, v145
	v_add_f16_e32 v95, v109, v95
	v_sub_f16_e32 v109, v111, v143
	v_add_f16_e32 v111, v118, v113
	v_add_f16_e32 v113, v159, v127
	v_mul_f16_e32 v138, 0xb461, v69
	v_mul_f16_e32 v151, 0x3bf7, v77
	;; [unrolled: 1-line block ×4, first 2 shown]
	v_add_f16_e32 v119, v121, v119
	v_sub_f16_e32 v121, v126, v149
	v_add_f16_e32 v109, v109, v95
	v_sub_f16_e32 v114, v114, v147
	v_add_f16_e32 v111, v113, v111
	v_add_f16_e32 v113, v164, v129
	;; [unrolled: 1-line block ×3, first 2 shown]
	v_mul_f16_e32 v142, 0x3b76, v71
	v_mul_f16_e32 v158, 0xb964, v79
	;; [unrolled: 1-line block ×3, first 2 shown]
	v_add_f16_e32 v119, v121, v119
	v_sub_f16_e32 v121, v128, v154
	v_add_f16_e32 v109, v114, v109
	v_sub_f16_e32 v114, v116, v151
	v_add_f16_e32 v111, v113, v111
	v_add_f16_e32 v113, v176, v131
	;; [unrolled: 1-line block ×4, first 2 shown]
	v_mul_f16_e32 v146, 0xbacd, v74
	v_mul_f16_e32 v163, 0xb1e1, v81
	;; [unrolled: 1-line block ×3, first 2 shown]
	v_add_f16_e32 v119, v121, v119
	v_sub_f16_e32 v121, v130, v160
	v_add_f16_e32 v109, v114, v109
	v_sub_f16_e32 v114, v120, v158
	v_add_f16_e32 v98, v113, v111
	v_mul_f16_e32 v113, 0xb461, v94
	v_add_f16_e32 v103, v103, v116
	v_add_f16_e32 v107, v142, v107
	v_mul_f16_e32 v150, 0x2de8, v76
	v_mul_f16_e32 v178, 0xbbb2, v83
	v_add_f16_e32 v119, v121, v119
	v_sub_f16_e32 v121, v132, v166
	v_add_f16_e32 v109, v114, v109
	v_sub_f16_e32 v111, v123, v163
	v_fmamk_f16 v114, v70, 0x3bb2, v113
	v_mul_f16_e32 v116, 0xbacd, v96
	v_add_f16_e32 v103, v107, v103
	v_add_f16_e32 v107, v146, v108
	v_mul_f16_e32 v155, 0x39e9, v78
	v_mul_f16_e32 v170, 0x3b29, v83
	v_add_f16_e32 v118, v121, v119
	v_sub_f16_e32 v119, v133, v178
	v_add_f16_e32 v108, v111, v109
	v_add_f16_e32 v109, v53, v114
	v_fmamk_f16 v111, v72, 0xb836, v116
	v_mul_f16_e32 v114, 0x39e9, v100
	v_add_f16_e32 v103, v107, v103
	v_add_f16_e32 v107, v150, v110
	v_mul_f16_e32 v162, 0xbbdd, v80
	v_mul_f16_e32 v174, 0xba62, v92
	v_add_f16_e32 v95, v119, v118
	v_sub_f16_e32 v110, v124, v170
	v_add_f16_e32 v109, v111, v109
	v_fmamk_f16 v111, v73, 0xb964, v114
	v_mul_f16_e32 v118, 0x3722, v102
	v_add_f16_e32 v107, v107, v103
	v_add_f16_e32 v112, v155, v112
	;; [unrolled: 1-line block ×3, first 2 shown]
	v_fma_f16 v171, v76, 0xb8d2, -v174
	v_mul_f16_e32 v180, 0x3b29, v93
	v_fmac_f16_e32 v174, 0xb8d2, v76
	v_add_f16_e32 v103, v110, v108
	v_add_f16_e32 v108, v111, v109
	v_fmamk_f16 v109, v75, 0x3b29, v118
	v_mul_f16_e32 v119, 0xbbdd, v106
	v_add_f16_e32 v107, v112, v107
	v_add_f16_e32 v110, v162, v115
	v_mul_f16_e32 v112, 0xbbb2, v85
	v_mul_f16_e32 v167, 0x3722, v82
	v_add_f16_e32 v156, v171, v156
	v_fma_f16 v171, v78, 0x3722, -v180
	v_mul_f16_e32 v157, 0xbbb2, v97
	v_add_f16_e32 v137, v174, v137
	v_fmac_f16_e32 v180, 0x3722, v78
	v_add_f16_e32 v108, v109, v108
	v_fmamk_f16 v109, v77, 0x31e1, v119
	v_mul_f16_e32 v115, 0x2de8, v101
	v_add_f16_e32 v107, v110, v107
	v_fmamk_f16 v110, v68, 0xb461, v112
	v_mul_f16_e32 v120, 0x3836, v87
	v_add_f16_e32 v156, v171, v156
	v_add_f16_e32 v86, v152, v86
	v_fma_f16 v152, v106, 0xb8d2, -v165
	v_fma_f16 v165, v80, 0xb461, -v157
	v_mul_f16_e32 v168, 0x3bf7, v99
	v_add_f16_e32 v136, v180, v137
	v_fmac_f16_e32 v157, 0xb461, v80
	v_add_f16_e32 v108, v109, v108
	v_fmamk_f16 v109, v79, 0xbbf7, v115
	v_mul_f16_e32 v121, 0x3b76, v104
	v_add_f16_e32 v110, v52, v110
	v_fmamk_f16 v111, v69, 0xbacd, v120
	v_mul_f16_e32 v122, 0x3964, v89
	v_add_f16_e32 v117, v167, v117
	v_add_f16_e32 v156, v165, v156
	v_fma_f16 v165, v82, 0x2de8, -v168
	v_add_f16_e32 v126, v157, v136
	v_fmac_f16_e32 v168, 0x2de8, v82
	v_add_f16_e32 v108, v109, v108
	v_fmamk_f16 v109, v81, 0x35c8, v121
	v_add_f16_e32 v110, v111, v110
	v_fmamk_f16 v111, v71, 0x39e9, v122
	v_mul_f16_e32 v123, 0xbb29, v90
	v_add_f16_e32 v107, v117, v107
	v_mul_f16_e32 v117, 0x2de8, v94
	v_add_f16_e32 v91, v168, v126
	v_add_f16_e32 v108, v109, v108
	;; [unrolled: 1-line block ×3, first 2 shown]
	v_fmamk_f16 v110, v74, 0x3722, v123
	v_mul_f16_e32 v124, 0xb1e1, v92
	v_fmamk_f16 v111, v70, 0x3bf7, v117
	v_mul_f16_e32 v126, 0xbbdd, v96
	v_mul_f16_e32 v125, 0xb8d2, v105
	v_add_f16_e32 v109, v110, v109
	v_fmamk_f16 v110, v76, 0xbbdd, v124
	v_mul_f16_e32 v127, 0x3bf7, v93
	v_add_f16_e32 v111, v53, v111
	v_fmamk_f16 v128, v72, 0x31e1, v126
	;; [unrolled: 3-line block ×4, first 2 shown]
	v_mul_f16_e32 v131, 0x3b76, v102
	v_fmamk_f16 v132, v83, 0x3a62, v125
	v_add_f16_e32 v109, v110, v109
	v_fmamk_f16 v110, v80, 0x3b76, v130
	v_add_f16_e32 v111, v128, v111
	v_fmamk_f16 v128, v75, 0xb5c8, v131
	v_mul_f16_e32 v133, 0x3722, v106
	v_add_f16_e32 v108, v132, v108
	v_mul_f16_e32 v132, 0xbbf7, v85
	v_mul_f16_e32 v134, 0xba62, v99
	v_add_f16_e32 v109, v110, v109
	v_add_f16_e32 v110, v128, v111
	v_fmamk_f16 v111, v77, 0x3b29, v133
	v_mul_f16_e32 v128, 0xbacd, v101
	v_fmamk_f16 v135, v68, 0x2de8, v132
	v_mul_f16_e32 v136, 0xb1e1, v87
	v_fmamk_f16 v140, v82, 0xb8d2, v134
	v_add_f16_e32 v110, v111, v110
	v_fmamk_f16 v111, v79, 0x3836, v128
	v_mul_f16_e32 v137, 0xb8d2, v104
	v_add_f16_e32 v135, v52, v135
	v_fmamk_f16 v138, v69, 0xbbdd, v136
	v_mul_f16_e32 v139, 0x3bb2, v89
	v_add_f16_e32 v109, v140, v109
	v_mul_f16_e32 v140, 0x3722, v94
	v_add_f16_e32 v110, v111, v110
	v_fmamk_f16 v111, v81, 0xba62, v137
	v_add_f16_e32 v135, v138, v135
	v_fmamk_f16 v138, v71, 0xb461, v139
	v_mul_f16_e32 v141, 0x35c8, v90
	v_fmamk_f16 v143, v70, 0x3b29, v140
	v_mul_f16_e32 v144, 0xb8d2, v96
	v_add_f16_e32 v110, v111, v110
	v_add_f16_e32 v111, v138, v135
	v_fmamk_f16 v135, v74, 0x3b76, v141
	v_mul_f16_e32 v138, 0xbb29, v92
	v_add_f16_e32 v143, v53, v143
	v_fmamk_f16 v146, v72, 0x3a62, v144
	v_mul_f16_e32 v147, 0xbbdd, v100
	v_mul_f16_e32 v142, 0x39e9, v105
	v_add_f16_e32 v111, v135, v111
	v_fmamk_f16 v135, v76, 0x3722, v138
	v_mul_f16_e32 v145, 0xb836, v93
	v_add_f16_e32 v143, v146, v143
	v_fmamk_f16 v146, v73, 0xb1e1, v147
	;; [unrolled: 3-line block ×3, first 2 shown]
	v_mul_f16_e32 v148, 0x3a62, v97
	v_fmamk_f16 v150, v83, 0xb964, v142
	v_add_f16_e32 v143, v146, v143
	v_fmamk_f16 v146, v75, 0xbbb2, v149
	v_mul_f16_e32 v151, 0x39e9, v106
	v_add_f16_e32 v86, v152, v86
	v_fma_f16 v152, v101, 0x3722, -v169
	v_add_f16_e32 v111, v135, v111
	v_fmamk_f16 v135, v80, 0xb8d2, v148
	v_add_f16_e32 v110, v150, v110
	v_add_f16_e32 v143, v146, v143
	v_fmamk_f16 v146, v77, 0xb964, v151
	v_mul_f16_e32 v150, 0x3b76, v101
	v_add_f16_e32 v152, v152, v86
	v_fma_f16 v169, v104, 0xb461, -v173
	v_add_f16_e32 v111, v135, v111
	v_mul_f16_e32 v135, 0xbb29, v85
	v_add_f16_e32 v143, v146, v143
	v_fmamk_f16 v146, v79, 0x35c8, v150
	v_mul_f16_e32 v155, 0x2de8, v104
	v_add_f16_e32 v86, v165, v156
	v_add_f16_e32 v152, v169, v152
	v_fma_f16 v156, v105, 0x2de8, -v179
	v_fmamk_f16 v153, v68, 0x3722, v135
	v_mul_f16_e32 v154, 0xba62, v87
	v_add_f16_e32 v143, v146, v143
	v_fmamk_f16 v146, v81, 0x3bf7, v155
	v_add_f16_e32 v88, v156, v152
	v_mul_f16_e32 v152, 0x3964, v99
	v_add_f16_e32 v153, v52, v153
	v_fmamk_f16 v156, v69, 0xb8d2, v154
	v_mul_f16_e32 v157, 0x31e1, v89
	v_add_f16_e32 v143, v146, v143
	v_mul_f16_e32 v146, 0x39e9, v94
	v_mul_f16_e32 v94, 0x3b76, v94
	v_add_f16_e32 v19, v19, v52
	v_fmamk_f16 v158, v82, 0x39e9, v152
	v_add_f16_e32 v153, v156, v153
	v_fmamk_f16 v156, v71, 0xbbdd, v157
	v_mul_f16_e32 v159, 0x3bb2, v90
	v_mul_f16_e32 v162, 0x2de8, v96
	v_fmamk_f16 v178, v70, 0x35c8, v94
	v_mul_f16_e32 v96, 0x39e9, v96
	v_add_f16_e32 v19, v20, v19
	v_add_f16_e32 v111, v158, v111
	;; [unrolled: 1-line block ×3, first 2 shown]
	v_fmamk_f16 v156, v74, 0xb461, v159
	v_mul_f16_e32 v158, 0x3964, v92
	v_mul_f16_e32 v165, 0xb8d2, v100
	v_add_f16_e32 v178, v53, v178
	v_fmamk_f16 v180, v72, 0x3964, v96
	v_mul_f16_e32 v100, 0x3722, v100
	v_add_f16_e32 v19, v21, v19
	v_mul_f16_e32 v160, 0xbacd, v105
	v_add_f16_e32 v153, v156, v153
	v_fmamk_f16 v156, v76, 0x39e9, v158
	v_mul_f16_e32 v163, 0xb5c8, v93
	v_mul_f16_e32 v167, 0xbbdd, v102
	v_add_f16_e32 v178, v180, v178
	v_fmamk_f16 v180, v73, 0x3b29, v100
	v_mul_f16_e32 v102, 0x2de8, v102
	v_add_f16_e32 v63, v63, v53
	v_add_f16_e32 v19, v22, v19
	;; [unrolled: 1-line block ×3, first 2 shown]
	v_fmamk_f16 v156, v78, 0x3b76, v163
	v_mul_f16_e32 v166, 0xbbf7, v97
	v_fmamk_f16 v168, v83, 0x3836, v160
	v_mul_f16_e32 v169, 0xbacd, v106
	v_add_f16_e32 v178, v180, v178
	v_fmamk_f16 v180, v75, 0x3bf7, v102
	v_mul_f16_e32 v106, 0xb461, v106
	v_add_f16_e32 v20, v62, v63
	v_add_f16_e32 v19, v23, v19
	;; [unrolled: 1-line block ×3, first 2 shown]
	v_fmamk_f16 v156, v80, 0x2de8, v166
	v_add_f16_e32 v143, v168, v143
	v_mul_f16_e32 v168, 0xb461, v101
	v_add_f16_e32 v178, v180, v178
	v_fmamk_f16 v180, v77, 0x3bb2, v106
	v_mul_f16_e32 v101, 0xb8d2, v101
	v_add_f16_e32 v20, v61, v20
	v_add_f16_e32 v19, v24, v19
	;; [unrolled: 1-line block ×3, first 2 shown]
	v_mul_f16_e32 v156, 0xb964, v85
	v_add_f16_e32 v178, v180, v178
	v_fmamk_f16 v62, v79, 0x3a62, v101
	v_mul_f16_e32 v85, 0xb5c8, v85
	v_add_f16_e32 v20, v60, v20
	v_add_f16_e32 v19, v25, v19
	v_mul_f16_e32 v22, 0xb964, v87
	v_add_f16_e32 v21, v62, v178
	v_fmamk_f16 v62, v68, 0x3b76, v85
	v_add_f16_e32 v20, v59, v20
	v_add_f16_e32 v19, v26, v19
	v_fmamk_f16 v23, v69, 0x39e9, v22
	v_mul_f16_e32 v59, 0xbb29, v89
	v_add_f16_e32 v62, v52, v62
	v_add_f16_e32 v20, v58, v20
	;; [unrolled: 1-line block ×3, first 2 shown]
	v_mul_f16_e32 v58, 0xbbf7, v90
	v_fmamk_f16 v24, v71, 0x3722, v59
	v_add_f16_e32 v23, v23, v62
	v_add_f16_e32 v20, v57, v20
	;; [unrolled: 1-line block ×3, first 2 shown]
	v_fmac_f16_e32 v113, 0xbbb2, v70
	v_fmac_f16_e32 v116, 0x3836, v72
	v_add_f16_e32 v23, v24, v23
	v_fmamk_f16 v24, v74, 0x2de8, v58
	v_add_f16_e32 v20, v56, v20
	v_mul_f16_e32 v56, 0xbbb2, v92
	v_add_f16_e32 v13, v13, v17
	v_fmac_f16_e32 v114, 0x3964, v73
	v_add_f16_e32 v23, v24, v23
	v_add_f16_e32 v19, v55, v20
	v_fmamk_f16 v20, v76, 0xb461, v56
	v_mul_f16_e32 v24, 0xba62, v93
	v_add_f16_e32 v13, v14, v13
	v_fmac_f16_e32 v118, 0xbb29, v75
	v_add_f16_e32 v18, v54, v19
	v_add_f16_e32 v19, v53, v113
	;; [unrolled: 1-line block ×3, first 2 shown]
	v_fmamk_f16 v23, v78, 0xb8d2, v24
	v_add_f16_e32 v9, v9, v13
	v_add_f16_e32 v17, v51, v18
	;; [unrolled: 1-line block ×3, first 2 shown]
	v_mul_f16_e32 v61, 0xbacd, v104
	v_add_f16_e32 v19, v23, v20
	v_mul_f16_e32 v20, 0xb836, v97
	v_add_f16_e32 v9, v10, v9
	v_add_f16_e32 v14, v37, v17
	;; [unrolled: 1-line block ×3, first 2 shown]
	v_mul_f16_e32 v23, 0xb1e1, v99
	v_fmamk_f16 v18, v80, 0xbacd, v20
	v_add_f16_e32 v9, v11, v9
	v_add_f16_e32 v13, v35, v14
	;; [unrolled: 1-line block ×3, first 2 shown]
	v_fmac_f16_e32 v117, 0xbbf7, v70
	v_add_f16_e32 v17, v18, v19
	v_fmamk_f16 v18, v82, 0xbbdd, v23
	v_add_f16_e32 v9, v12, v9
	v_fma_f16 v12, v68, 0xb461, -v112
	v_fmamk_f16 v60, v81, 0x3836, v61
	v_mul_f16_e32 v25, 0xbbdd, v105
	v_add_f16_e32 v11, v18, v17
	v_fma_f16 v17, v69, 0xbacd, -v120
	v_add_f16_e32 v12, v52, v12
	v_add_f16_e32 v18, v53, v117
	v_fmac_f16_e32 v126, 0xb1e1, v72
	v_add_f16_e32 v21, v60, v21
	v_fmamk_f16 v26, v83, 0x31e1, v25
	v_fmac_f16_e32 v119, 0xb1e1, v77
	v_fma_f16 v19, v68, 0x2de8, -v132
	v_add_f16_e32 v12, v17, v12
	v_fma_f16 v17, v71, 0x39e9, -v122
	v_add_f16_e32 v18, v126, v18
	v_fmac_f16_e32 v129, 0x3bb2, v73
	v_add_f16_e32 v10, v34, v13
	v_add_f16_e32 v13, v119, v14
	;; [unrolled: 1-line block ×4, first 2 shown]
	v_fma_f16 v21, v69, 0xbbdd, -v136
	v_add_f16_e32 v12, v17, v12
	v_fma_f16 v17, v74, 0x3722, -v123
	v_add_f16_e32 v18, v129, v18
	v_fmac_f16_e32 v131, 0x35c8, v75
	v_add_f16_e32 v19, v21, v19
	v_fma_f16 v21, v71, 0xb461, -v139
	v_add_f16_e32 v12, v17, v12
	v_fma_f16 v17, v76, 0xbbdd, -v124
	v_add_f16_e32 v18, v131, v18
	v_fmac_f16_e32 v133, 0xbb29, v77
	v_add_f16_e32 v19, v21, v19
	;; [unrolled: 6-line block ×5, first 2 shown]
	v_fma_f16 v21, v80, 0xb8d2, -v148
	v_add_f16_e32 v12, v17, v12
	v_fmac_f16_e32 v140, 0xbb29, v70
	v_add_f16_e32 v17, v142, v18
	v_fma_f16 v18, v68, 0x3722, -v135
	v_fmamk_f16 v161, v70, 0x3964, v146
	v_add_f16_e32 v10, v33, v10
	v_add_f16_e32 v19, v21, v19
	v_fma_f16 v21, v82, 0x39e9, -v152
	v_add_f16_e32 v26, v53, v140
	v_fmac_f16_e32 v144, 0xba62, v72
	v_add_f16_e32 v18, v52, v18
	v_fma_f16 v33, v69, 0xb8d2, -v154
	v_fmac_f16_e32 v146, 0xb964, v70
	v_add_f16_e32 v161, v53, v161
	v_fmamk_f16 v164, v72, 0x3bf7, v162
	v_add_f16_e32 v19, v21, v19
	v_add_f16_e32 v21, v144, v26
	v_add_f16_e32 v18, v33, v18
	v_fma_f16 v26, v71, 0xbbdd, -v157
	v_add_f16_e32 v33, v53, v146
	v_fmac_f16_e32 v162, 0xbbf7, v72
	v_add_f16_e32 v161, v164, v161
	v_fmamk_f16 v164, v73, 0x3a62, v165
	v_add_f16_e32 v18, v26, v18
	v_fma_f16 v26, v74, 0xb461, -v159
	v_add_f16_e32 v33, v162, v33
	v_fmac_f16_e32 v165, 0xba62, v73
	v_add_f16_e32 v161, v164, v161
	v_fmamk_f16 v164, v75, 0x31e1, v167
	v_add_f16_e32 v18, v26, v18
	v_fma_f16 v26, v76, 0x39e9, -v158
	v_add_f16_e32 v33, v165, v33
	v_fmac_f16_e32 v167, 0xb1e1, v75
	v_add_f16_e32 v161, v164, v161
	v_fmamk_f16 v164, v77, 0xb836, v169
	v_fmamk_f16 v171, v68, 0x39e9, v156
	v_mul_f16_e32 v172, 0xbbf7, v87
	v_add_f16_e32 v18, v26, v18
	v_fma_f16 v26, v78, 0x3b76, -v163
	v_add_f16_e32 v33, v167, v33
	v_fmac_f16_e32 v169, 0x3836, v77
	v_add_f16_e32 v161, v164, v161
	v_fmamk_f16 v164, v79, 0xbbb2, v168
	v_mul_f16_e32 v173, 0x3722, v104
	v_add_f16_e32 v171, v52, v171
	v_fmamk_f16 v174, v69, 0x2de8, v172
	v_mul_f16_e32 v175, 0xba62, v89
	v_mul_f16_e32 v170, 0xb836, v99
	v_add_f16_e32 v18, v26, v18
	v_fma_f16 v26, v80, 0x2de8, -v166
	v_add_f16_e32 v33, v169, v33
	v_fmac_f16_e32 v168, 0x3bb2, v79
	v_add_f16_e32 v161, v164, v161
	v_fmamk_f16 v164, v81, 0xbb29, v173
	v_add_f16_e32 v171, v174, v171
	v_fmamk_f16 v174, v71, 0xb8d2, v175
	v_mul_f16_e32 v177, 0xb1e1, v90
	v_add_f16_e32 v18, v26, v18
	v_fma_f16 v26, v82, 0xbacd, -v170
	v_add_f16_e32 v33, v168, v33
	v_fmac_f16_e32 v173, 0x3b29, v81
	v_fma_f16 v34, v68, 0x39e9, -v156
	v_fmac_f16_e32 v94, 0xb5c8, v70
	v_add_f16_e32 v10, v36, v10
	v_fma_f16 v36, v68, 0x3b76, -v85
	v_add_f16_e32 v161, v164, v161
	v_add_f16_e32 v164, v174, v171
	v_fmamk_f16 v171, v74, 0xbbdd, v177
	v_mul_f16_e32 v174, 0x3836, v92
	v_add_f16_e32 v18, v26, v18
	v_add_f16_e32 v26, v173, v33
	;; [unrolled: 1-line block ×3, first 2 shown]
	v_fma_f16 v34, v69, 0x2de8, -v172
	v_add_f16_e32 v35, v53, v94
	v_fmac_f16_e32 v96, 0xb964, v72
	v_add_f16_e32 v36, v52, v36
	v_fma_f16 v22, v69, 0x39e9, -v22
	v_add_f16_e32 v164, v171, v164
	v_fmamk_f16 v171, v76, 0xbacd, v174
	v_mul_f16_e32 v179, 0x3bb2, v93
	v_add_f16_e32 v33, v34, v33
	v_fma_f16 v34, v71, 0xb8d2, -v175
	v_fmac_f16_e32 v147, 0x31e1, v73
	v_add_f16_e32 v35, v96, v35
	v_fmac_f16_e32 v100, 0xbb29, v73
	v_add_f16_e32 v22, v22, v36
	v_fma_f16 v36, v71, 0x3722, -v59
	v_fmamk_f16 v176, v82, 0xbacd, v170
	v_add_f16_e32 v164, v171, v164
	v_fmamk_f16 v171, v78, 0xb461, v179
	v_mul_f16_e32 v181, 0x3b29, v97
	v_add_f16_e32 v33, v34, v33
	v_fma_f16 v34, v74, 0xbbdd, -v177
	v_add_f16_e32 v21, v147, v21
	v_fmac_f16_e32 v149, 0x3bb2, v75
	v_add_f16_e32 v35, v100, v35
	v_fmac_f16_e32 v102, 0xbbf7, v75
	v_add_f16_e32 v22, v36, v22
	v_fma_f16 v36, v74, 0x2de8, -v58
	v_add_f16_e32 v153, v176, v153
	v_mul_f16_e32 v176, 0x3b76, v105
	v_add_f16_e32 v164, v171, v164
	v_fmamk_f16 v171, v80, 0x3722, v181
	v_add_f16_e32 v33, v34, v33
	v_fma_f16 v34, v76, 0xbacd, -v174
	v_add_f16_e32 v21, v149, v21
	v_fmac_f16_e32 v151, 0x3964, v77
	v_add_f16_e32 v35, v102, v35
	v_fmac_f16_e32 v106, 0xbbb2, v77
	v_add_f16_e32 v22, v36, v22
	v_fma_f16 v36, v76, 0xb461, -v56
	v_fmamk_f16 v182, v83, 0xb5c8, v176
	v_add_f16_e32 v164, v171, v164
	v_mul_f16_e32 v171, 0x35c8, v99
	v_fmac_f16_e32 v115, 0x3bf7, v79
	v_add_f16_e32 v33, v34, v33
	v_fma_f16 v34, v78, 0xb461, -v179
	v_add_f16_e32 v21, v151, v21
	v_fmac_f16_e32 v150, 0xb5c8, v79
	v_add_f16_e32 v35, v106, v35
	v_fmac_f16_e32 v101, 0xba62, v79
	v_add_f16_e32 v22, v36, v22
	v_fma_f16 v24, v78, 0xb8d2, -v24
	v_fmac_f16_e32 v176, 0x35c8, v83
	v_add_f16_e32 v161, v182, v161
	v_fmamk_f16 v182, v82, 0x3b76, v171
	v_add_f16_e32 v13, v115, v13
	v_fmac_f16_e32 v121, 0xb5c8, v81
	v_add_f16_e32 v33, v34, v33
	v_fma_f16 v34, v80, 0x3722, -v181
	v_add_f16_e32 v21, v150, v21
	v_fmac_f16_e32 v155, 0xbbf7, v81
	v_add_f16_e32 v35, v101, v35
	v_fmac_f16_e32 v61, 0xb836, v81
	v_add_f16_e32 v22, v24, v22
	v_fma_f16 v20, v80, 0xbacd, -v20
	v_add_f16_e32 v24, v176, v26
	v_and_b32_e32 v26, 0xffff, v32
	v_add_f16_e32 v63, v182, v164
	v_add_f16_e32 v13, v121, v13
	v_fmac_f16_e32 v125, 0xba62, v83
	v_add_f16_e32 v33, v34, v33
	v_fma_f16 v34, v82, 0x3b76, -v171
	v_add_f16_e32 v21, v155, v21
	v_fmac_f16_e32 v160, 0xb836, v83
	v_add_f16_e32 v35, v61, v35
	v_fmac_f16_e32 v25, 0xb1e1, v83
	v_add_f16_e32 v20, v20, v22
	v_fma_f16 v22, v82, 0xbbdd, -v23
	v_lshl_add_u32 v23, v26, 2, v30
	v_pack_b32_f16 v11, v11, v14
	v_pack_b32_f16 v9, v9, v10
	;; [unrolled: 1-line block ×4, first 2 shown]
	v_add_f16_e32 v13, v125, v13
	v_add_f16_e32 v32, v34, v33
	v_pack_b32_f16 v26, v109, v108
	v_pack_b32_f16 v33, v111, v110
	v_add_f16_e32 v21, v160, v21
	v_add_f16_e32 v25, v25, v35
	v_pack_b32_f16 v34, v98, v95
	v_pack_b32_f16 v35, v107, v103
	v_add_f16_e32 v20, v22, v20
	ds_write2_b32 v23, v9, v11 offset1:1
	ds_write2_b32 v23, v14, v10 offset0:2 offset1:3
	ds_write2_b32 v23, v33, v26 offset0:4 offset1:5
	ds_write2_b32 v23, v35, v34 offset0:6 offset1:7
	v_pack_b32_f16 v9, v86, v84
	v_pack_b32_f16 v10, v91, v88
	v_perm_b32 v11, v67, v66, 0x5040100
	v_perm_b32 v14, v65, v64, 0x5040100
	v_pack_b32_f16 v17, v19, v17
	v_pack_b32_f16 v12, v12, v13
	;; [unrolled: 1-line block ×5, first 2 shown]
	ds_write2_b32 v23, v10, v9 offset0:8 offset1:9
	ds_write2_b32 v23, v14, v11 offset0:10 offset1:11
	;; [unrolled: 1-line block ×4, first 2 shown]
	ds_write_b32 v23, v19 offset:64
.LBB0_17:
	s_or_b32 exec_lo, exec_lo, s1
	v_add_nc_u32_e32 v17, 0x400, v38
	s_waitcnt lgkmcnt(0)
	s_barrier
	buffer_gl0_inv
	ds_read2_b32 v[13:14], v38 offset1:34
	ds_read2_b32 v[9:10], v38 offset0:136 offset1:187
	ds_read2_b32 v[19:20], v38 offset0:221 offset1:255
	;; [unrolled: 1-line block ×4, first 2 shown]
	s_and_saveexec_b32 s1, s0
	s_cbranch_execz .LBB0_19
; %bb.18:
	ds_read_b32 v64, v38 offset:680
	ds_read_b32 v66, v38 offset:1428
	s_waitcnt lgkmcnt(1)
	v_lshrrev_b32_e32 v65, 16, v64
	s_waitcnt lgkmcnt(0)
	v_lshrrev_b32_e32 v67, 16, v66
.LBB0_19:
	s_or_b32 exec_lo, exec_lo, s1
	s_waitcnt lgkmcnt(3)
	v_lshrrev_b32_e32 v22, 16, v10
	s_waitcnt lgkmcnt(2)
	v_lshrrev_b32_e32 v24, 16, v19
	v_lshrrev_b32_e32 v26, 16, v20
	v_mul_f16_sdwa v52, v45, v19 dst_sel:DWORD dst_unused:UNUSED_PAD src0_sel:WORD_1 src1_sel:DWORD
	s_waitcnt lgkmcnt(0)
	v_lshrrev_b32_e32 v33, 16, v17
	v_mul_f16_sdwa v35, v43, v22 dst_sel:DWORD dst_unused:UNUSED_PAD src0_sel:WORD_1 src1_sel:DWORD
	v_mul_f16_sdwa v51, v45, v24 dst_sel:DWORD dst_unused:UNUSED_PAD src0_sel:WORD_1 src1_sel:DWORD
	;; [unrolled: 1-line block ×3, first 2 shown]
	v_lshrrev_b32_e32 v36, 16, v18
	v_lshrrev_b32_e32 v21, 16, v13
	v_fmac_f16_e32 v35, v43, v10
	v_mul_f16_sdwa v10, v44, v26 dst_sel:DWORD dst_unused:UNUSED_PAD src0_sel:WORD_1 src1_sel:DWORD
	v_fmac_f16_e32 v51, v45, v19
	v_fma_f16 v19, v45, v24, -v52
	v_mul_f16_sdwa v24, v44, v20 dst_sel:DWORD dst_unused:UNUSED_PAD src0_sel:WORD_1 src1_sel:DWORD
	v_fma_f16 v22, v43, v22, -v37
	v_fmac_f16_e32 v10, v44, v20
	v_mul_f16_sdwa v20, v42, v33 dst_sel:DWORD dst_unused:UNUSED_PAD src0_sel:WORD_1 src1_sel:DWORD
	v_mul_f16_sdwa v37, v42, v17 dst_sel:DWORD dst_unused:UNUSED_PAD src0_sel:WORD_1 src1_sel:DWORD
	;; [unrolled: 1-line block ×3, first 2 shown]
	v_fma_f16 v24, v44, v26, -v24
	v_mul_f16_sdwa v26, v41, v18 dst_sel:DWORD dst_unused:UNUSED_PAD src0_sel:WORD_1 src1_sel:DWORD
	v_lshrrev_b32_e32 v23, 16, v14
	v_lshrrev_b32_e32 v25, 16, v11
	;; [unrolled: 1-line block ×3, first 2 shown]
	v_fmac_f16_e32 v20, v42, v17
	v_fma_f16 v17, v42, v33, -v37
	v_lshrrev_b32_e32 v34, 16, v9
	v_fmac_f16_e32 v43, v41, v18
	v_fma_f16 v26, v41, v36, -v26
	v_sub_f16_e32 v18, v13, v35
	v_sub_f16_e32 v22, v21, v22
	;; [unrolled: 1-line block ×10, first 2 shown]
	v_fma_f16 v13, v13, 2.0, -v18
	v_fma_f16 v21, v21, 2.0, -v22
	;; [unrolled: 1-line block ×10, first 2 shown]
	v_pack_b32_f16 v13, v13, v21
	v_pack_b32_f16 v18, v18, v22
	v_pack_b32_f16 v14, v14, v23
	v_pack_b32_f16 v19, v33, v19
	v_pack_b32_f16 v11, v11, v25
	v_pack_b32_f16 v10, v10, v24
	v_pack_b32_f16 v12, v12, v32
	v_pack_b32_f16 v17, v20, v17
	v_pack_b32_f16 v9, v9, v34
	v_pack_b32_f16 v20, v35, v26
	s_barrier
	buffer_gl0_inv
	ds_write2_b32 v46, v13, v18 offset1:17
	ds_write2_b32 v50, v14, v19 offset1:17
	;; [unrolled: 1-line block ×5, first 2 shown]
	s_and_saveexec_b32 s1, s0
	s_cbranch_execz .LBB0_21
; %bb.20:
	v_mul_f16_sdwa v9, v40, v67 dst_sel:DWORD dst_unused:UNUSED_PAD src0_sel:WORD_1 src1_sel:DWORD
	v_mul_f16_sdwa v10, v40, v66 dst_sel:DWORD dst_unused:UNUSED_PAD src0_sel:WORD_1 src1_sel:DWORD
	v_lshl_add_u32 v13, v39, 2, v30
	v_fmac_f16_e32 v9, v40, v66
	v_fma_f16 v10, v40, v67, -v10
	v_sub_f16_e32 v9, v64, v9
	v_sub_f16_e32 v10, v65, v10
	v_fma_f16 v11, v64, 2.0, -v9
	v_fma_f16 v12, v65, 2.0, -v10
	v_pack_b32_f16 v9, v9, v10
	v_pack_b32_f16 v10, v11, v12
	v_add_nc_u32_e32 v11, 0x400, v13
	ds_write2_b32 v11, v10, v9 offset0:84 offset1:101
.LBB0_21:
	s_or_b32 exec_lo, exec_lo, s1
	s_waitcnt lgkmcnt(0)
	s_barrier
	buffer_gl0_inv
	ds_read2_b32 v[9:10], v38 offset1:34
	ds_read2_b32 v[11:12], v38 offset0:68 offset1:102
	ds_read_b32 v21, v38 offset:544
	ds_read2_b32 v[13:14], v38 offset0:170 offset1:204
	v_add_nc_u32_e32 v17, 0x200, v38
	v_add_nc_u32_e32 v19, 0x400, v38
	ds_read2_b32 v[17:18], v17 offset0:110 offset1:144
	ds_read2_b32 v[19:20], v19 offset0:50 offset1:84
	s_waitcnt lgkmcnt(5)
	v_lshrrev_b32_e32 v22, 16, v10
	s_waitcnt lgkmcnt(4)
	v_lshrrev_b32_e32 v23, 16, v11
	;; [unrolled: 2-line block ×3, first 2 shown]
	v_mul_f16_sdwa v32, v4, v10 dst_sel:DWORD dst_unused:UNUSED_PAD src0_sel:WORD_1 src1_sel:DWORD
	v_mul_f16_sdwa v33, v5, v11 dst_sel:DWORD dst_unused:UNUSED_PAD src0_sel:WORD_1 src1_sel:DWORD
	;; [unrolled: 1-line block ×4, first 2 shown]
	v_lshrrev_b32_e32 v24, 16, v12
	s_waitcnt lgkmcnt(2)
	v_lshrrev_b32_e32 v26, 16, v13
	v_fma_f16 v22, v4, v22, -v32
	v_mul_f16_sdwa v41, v7, v25 dst_sel:DWORD dst_unused:UNUSED_PAD src0_sel:WORD_1 src1_sel:DWORD
	v_fmac_f16_e32 v39, v4, v10
	v_fmac_f16_e32 v40, v5, v11
	v_fma_f16 v4, v5, v23, -v33
	v_mul_f16_sdwa v5, v7, v21 dst_sel:DWORD dst_unused:UNUSED_PAD src0_sel:WORD_1 src1_sel:DWORD
	v_mul_f16_sdwa v32, v6, v24 dst_sel:DWORD dst_unused:UNUSED_PAD src0_sel:WORD_1 src1_sel:DWORD
	v_fmac_f16_e32 v41, v7, v21
	v_mul_f16_sdwa v10, v0, v26 dst_sel:DWORD dst_unused:UNUSED_PAD src0_sel:WORD_1 src1_sel:DWORD
	v_lshrrev_b32_e32 v30, 16, v14
	v_fma_f16 v5, v7, v25, -v5
	v_add_f16_e32 v7, v9, v39
	v_mul_f16_sdwa v34, v6, v12 dst_sel:DWORD dst_unused:UNUSED_PAD src0_sel:WORD_1 src1_sel:DWORD
	v_fmac_f16_e32 v32, v6, v12
	v_mul_f16_sdwa v11, v0, v13 dst_sel:DWORD dst_unused:UNUSED_PAD src0_sel:WORD_1 src1_sel:DWORD
	v_fmac_f16_e32 v10, v0, v13
	v_add_f16_sdwa v13, v9, v22 dst_sel:DWORD dst_unused:UNUSED_PAD src0_sel:WORD_1 src1_sel:DWORD
	v_add_f16_e32 v7, v7, v40
	s_waitcnt lgkmcnt(1)
	v_lshrrev_b32_e32 v35, 16, v17
	v_fma_f16 v6, v6, v24, -v34
	v_mul_f16_sdwa v12, v1, v30 dst_sel:DWORD dst_unused:UNUSED_PAD src0_sel:WORD_1 src1_sel:DWORD
	v_fma_f16 v0, v0, v26, -v11
	v_mul_f16_sdwa v11, v1, v14 dst_sel:DWORD dst_unused:UNUSED_PAD src0_sel:WORD_1 src1_sel:DWORD
	v_add_f16_e32 v13, v13, v4
	v_add_f16_e32 v7, v7, v32
	v_lshrrev_b32_e32 v36, 16, v18
	v_fmac_f16_e32 v12, v1, v14
	v_mul_f16_sdwa v14, v2, v35 dst_sel:DWORD dst_unused:UNUSED_PAD src0_sel:WORD_1 src1_sel:DWORD
	v_fma_f16 v1, v1, v30, -v11
	v_add_f16_e32 v11, v13, v6
	v_add_f16_e32 v7, v7, v41
	s_waitcnt lgkmcnt(0)
	v_lshrrev_b32_e32 v37, 16, v19
	v_mul_f16_sdwa v21, v2, v17 dst_sel:DWORD dst_unused:UNUSED_PAD src0_sel:WORD_1 src1_sel:DWORD
	v_fmac_f16_e32 v14, v2, v17
	v_mul_f16_sdwa v13, v3, v36 dst_sel:DWORD dst_unused:UNUSED_PAD src0_sel:WORD_1 src1_sel:DWORD
	v_add_f16_e32 v11, v11, v5
	v_add_f16_e32 v7, v7, v10
	v_mul_f16_sdwa v17, v3, v18 dst_sel:DWORD dst_unused:UNUSED_PAD src0_sel:WORD_1 src1_sel:DWORD
	v_lshrrev_b32_e32 v38, 16, v20
	v_fma_f16 v2, v2, v35, -v21
	v_mul_f16_sdwa v21, v15, v37 dst_sel:DWORD dst_unused:UNUSED_PAD src0_sel:WORD_1 src1_sel:DWORD
	v_fmac_f16_e32 v13, v3, v18
	v_add_f16_e32 v11, v11, v0
	v_add_f16_e32 v7, v7, v12
	v_fma_f16 v3, v3, v36, -v17
	v_mul_f16_sdwa v17, v16, v20 dst_sel:DWORD dst_unused:UNUSED_PAD src0_sel:WORD_1 src1_sel:DWORD
	v_fmac_f16_e32 v21, v15, v19
	v_add_f16_e32 v11, v11, v1
	v_add_f16_e32 v7, v7, v14
	v_mul_f16_sdwa v18, v15, v19 dst_sel:DWORD dst_unused:UNUSED_PAD src0_sel:WORD_1 src1_sel:DWORD
	v_mul_f16_sdwa v19, v16, v38 dst_sel:DWORD dst_unused:UNUSED_PAD src0_sel:WORD_1 src1_sel:DWORD
	v_fma_f16 v17, v16, v38, -v17
	v_add_f16_e32 v11, v11, v2
	v_add_f16_e32 v7, v7, v13
	v_fma_f16 v15, v15, v37, -v18
	v_fmac_f16_e32 v19, v16, v20
	v_sub_f16_e32 v16, v22, v17
	v_add_f16_e32 v11, v11, v3
	v_add_f16_e32 v7, v7, v21
	;; [unrolled: 1-line block ×4, first 2 shown]
	v_mul_f16_e32 v22, 0xb853, v16
	v_sub_f16_e32 v45, v4, v15
	v_add_f16_e32 v11, v11, v15
	v_sub_f16_e32 v23, v39, v19
	v_mul_f16_e32 v24, 0x3abb, v18
	v_fmamk_f16 v25, v20, 0x3abb, v22
	v_add_f16_e32 v7, v7, v19
	v_mul_f16_e32 v19, 0xbb47, v16
	v_mul_f16_e32 v30, 0x36a6, v18
	;; [unrolled: 1-line block ×8, first 2 shown]
	v_add_f16_e32 v47, v40, v21
	v_mul_f16_e32 v48, 0xbb47, v45
	v_add_f16_e32 v4, v4, v15
	v_add_f16_e32 v11, v11, v17
	v_fmamk_f16 v17, v23, 0x3853, v24
	v_add_f16_e32 v25, v9, v25
	v_fma_f16 v22, v20, 0x3abb, -v22
	v_fmac_f16_e32 v24, 0xb853, v23
	v_fmamk_f16 v26, v20, 0x36a6, v19
	v_fmamk_f16 v34, v23, 0x3b47, v30
	v_fma_f16 v19, v20, 0x36a6, -v19
	v_fmac_f16_e32 v30, 0xbb47, v23
	v_fmamk_f16 v35, v20, 0xb08e, v33
	v_fmamk_f16 v37, v23, 0x3beb, v36
	;; [unrolled: 4-line block ×4, first 2 shown]
	v_fma_f16 v15, v20, 0xbbad, -v16
	v_fmac_f16_e32 v18, 0xb482, v23
	v_sub_f16_e32 v16, v40, v21
	v_fmamk_f16 v20, v47, 0x36a6, v48
	v_mul_f16_e32 v21, 0x36a6, v4
	v_add_f16_sdwa v17, v9, v17 dst_sel:DWORD dst_unused:UNUSED_PAD src0_sel:WORD_1 src1_sel:DWORD
	v_add_f16_e32 v22, v9, v22
	v_add_f16_sdwa v24, v9, v24 dst_sel:DWORD dst_unused:UNUSED_PAD src0_sel:WORD_1 src1_sel:DWORD
	v_add_f16_e32 v26, v9, v26
	;; [unrolled: 2-line block ×10, first 2 shown]
	v_fmamk_f16 v20, v16, 0x3b47, v21
	v_mul_f16_e32 v25, 0xba0c, v45
	v_fma_f16 v40, v47, 0x36a6, -v48
	v_fmac_f16_e32 v21, 0xbb47, v16
	v_mul_f16_e32 v46, 0xb93d, v4
	v_add_f16_e32 v17, v20, v17
	v_fmamk_f16 v20, v47, 0xb93d, v25
	v_add_f16_e32 v22, v40, v22
	v_add_f16_e32 v21, v21, v24
	v_fmamk_f16 v24, v16, 0x3a0c, v46
	v_mul_f16_e32 v40, 0x3482, v45
	v_add_f16_e32 v20, v20, v26
	v_fma_f16 v25, v47, 0xb93d, -v25
	v_fmac_f16_e32 v46, 0xba0c, v16
	v_add_f16_e32 v24, v24, v34
	v_fmamk_f16 v26, v47, 0xbbad, v40
	v_mul_f16_e32 v34, 0xbbad, v4
	v_add_f16_e32 v19, v25, v19
	v_add_f16_e32 v25, v46, v30
	v_mul_f16_e32 v30, 0x3beb, v45
	v_add_f16_e32 v26, v26, v35
	v_fmamk_f16 v35, v16, 0xb482, v34
	v_mul_f16_e32 v48, 0xb08e, v4
	v_fma_f16 v40, v47, 0xbbad, -v40
	v_fmamk_f16 v46, v47, 0xb08e, v30
	v_mul_f16_e32 v4, 0x3abb, v4
	v_add_f16_e32 v35, v35, v37
	v_fmamk_f16 v37, v16, 0xbbeb, v48
	v_fma_f16 v30, v47, 0xb08e, -v30
	v_fmac_f16_e32 v48, 0x3beb, v16
	v_fmac_f16_e32 v34, 0x3482, v16
	v_add_f16_e32 v33, v40, v33
	v_mul_f16_e32 v40, 0x3853, v45
	v_add_f16_e32 v37, v37, v43
	v_fmamk_f16 v43, v16, 0xb853, v4
	v_add_f16_e32 v30, v30, v38
	v_add_f16_e32 v38, v48, v39
	v_sub_f16_e32 v39, v6, v3
	v_add_f16_e32 v3, v6, v3
	v_add_f16_e32 v34, v34, v36
	;; [unrolled: 1-line block ×3, first 2 shown]
	v_fmamk_f16 v42, v47, 0x3abb, v40
	v_add_f16_e32 v23, v43, v23
	v_add_f16_e32 v43, v32, v13
	v_mul_f16_e32 v6, 0xbbeb, v39
	v_fma_f16 v40, v47, 0x3abb, -v40
	v_fmac_f16_e32 v4, 0x3853, v16
	v_sub_f16_e32 v13, v32, v13
	v_mul_f16_e32 v16, 0xb08e, v3
	v_fmamk_f16 v32, v43, 0xb08e, v6
	v_add_f16_e32 v15, v40, v15
	v_add_f16_e32 v4, v4, v9
	v_mul_f16_e32 v9, 0x3482, v39
	v_fmamk_f16 v40, v13, 0x3beb, v16
	v_add_f16_e32 v18, v32, v18
	v_fma_f16 v6, v43, 0xb08e, -v6
	v_fmac_f16_e32 v16, 0xbbeb, v13
	v_fmamk_f16 v32, v43, 0xbbad, v9
	v_add_f16_e32 v17, v40, v17
	v_mul_f16_e32 v40, 0xbbad, v3
	v_add_f16_e32 v6, v6, v22
	v_add_f16_e32 v16, v16, v21
	;; [unrolled: 1-line block ×3, first 2 shown]
	v_mul_f16_e32 v32, 0x36a6, v3
	v_fmamk_f16 v22, v13, 0xb482, v40
	v_mul_f16_e32 v21, 0x3b47, v39
	v_add_f16_e32 v42, v42, v44
	v_fma_f16 v9, v43, 0xbbad, -v9
	v_fmac_f16_e32 v40, 0x3482, v13
	v_add_f16_e32 v22, v22, v24
	v_fmamk_f16 v24, v13, 0xbb47, v32
	v_fmamk_f16 v44, v43, 0x36a6, v21
	v_fma_f16 v21, v43, 0x36a6, -v21
	v_fmac_f16_e32 v32, 0x3b47, v13
	v_add_f16_e32 v9, v9, v19
	v_add_f16_e32 v24, v24, v35
	v_mul_f16_e32 v35, 0x3abb, v3
	v_add_f16_e32 v19, v40, v25
	v_add_f16_e32 v25, v44, v26
	v_mul_f16_e32 v26, 0xb853, v39
	;; [unrolled: 3-line block ×3, first 2 shown]
	v_fmamk_f16 v34, v13, 0x3853, v35
	v_fmamk_f16 v40, v43, 0x3abb, v26
	v_fma_f16 v26, v43, 0x3abb, -v26
	v_fmac_f16_e32 v35, 0xb853, v13
	v_fmamk_f16 v39, v43, 0xb93d, v33
	v_add_f16_e32 v34, v34, v37
	v_mul_f16_e32 v3, 0xb93d, v3
	v_sub_f16_e32 v37, v5, v2
	v_add_f16_e32 v2, v5, v2
	v_add_f16_e32 v26, v26, v30
	;; [unrolled: 1-line block ×4, first 2 shown]
	v_fmamk_f16 v38, v13, 0x3a0c, v3
	v_fma_f16 v33, v43, 0xb93d, -v33
	v_add_f16_e32 v5, v41, v14
	v_mul_f16_e32 v39, 0xba0c, v37
	v_fmac_f16_e32 v3, 0xba0c, v13
	v_sub_f16_e32 v13, v41, v14
	v_mul_f16_e32 v14, 0xb93d, v2
	v_add_f16_e32 v23, v38, v23
	v_fmamk_f16 v38, v5, 0xb93d, v39
	v_add_f16_e32 v15, v33, v15
	v_add_f16_e32 v3, v3, v4
	v_fmamk_f16 v4, v13, 0x3a0c, v14
	v_mul_f16_e32 v33, 0x3beb, v37
	v_fmac_f16_e32 v14, 0xba0c, v13
	v_add_f16_e32 v18, v38, v18
	v_fma_f16 v38, v5, 0xb93d, -v39
	v_add_f16_e32 v4, v4, v17
	v_fmamk_f16 v17, v5, 0xb08e, v33
	v_mul_f16_e32 v39, 0xb08e, v2
	v_add_f16_e32 v14, v14, v16
	v_mul_f16_e32 v16, 0xb853, v37
	v_add_f16_e32 v36, v40, v36
	v_add_f16_e32 v6, v38, v6
	;; [unrolled: 1-line block ×3, first 2 shown]
	v_fmamk_f16 v20, v13, 0xbbeb, v39
	v_fma_f16 v33, v5, 0xb08e, -v33
	v_fmamk_f16 v38, v5, 0x3abb, v16
	v_mul_f16_e32 v40, 0x3abb, v2
	v_fma_f16 v16, v5, 0x3abb, -v16
	v_add_f16_e32 v20, v20, v22
	v_add_f16_e32 v9, v33, v9
	;; [unrolled: 1-line block ×3, first 2 shown]
	v_fmamk_f16 v25, v13, 0x3853, v40
	v_mul_f16_e32 v33, 0xb482, v37
	v_mul_f16_e32 v38, 0xbbad, v2
	v_add_f16_e32 v16, v16, v21
	v_mul_f16_e32 v37, 0x3b47, v37
	v_add_f16_e32 v24, v25, v24
	v_fmamk_f16 v25, v5, 0xbbad, v33
	v_fma_f16 v33, v5, 0xbbad, -v33
	v_fmamk_f16 v21, v13, 0x3482, v38
	v_fmac_f16_e32 v38, 0xb482, v13
	v_mul_f16_e32 v2, 0x36a6, v2
	v_add_f16_e32 v25, v25, v36
	v_add_f16_e32 v26, v33, v26
	v_sub_f16_e32 v33, v0, v1
	v_add_f16_e32 v21, v21, v34
	v_fmamk_f16 v34, v5, 0x36a6, v37
	v_add_f16_e32 v30, v38, v30
	v_add_f16_e32 v36, v10, v12
	v_mul_f16_e32 v38, 0xb482, v33
	v_add_f16_e32 v0, v0, v1
	v_add_f16_e32 v34, v34, v35
	v_fmamk_f16 v35, v13, 0xbb47, v2
	v_fma_f16 v1, v5, 0x36a6, -v37
	v_fmac_f16_e32 v2, 0x3b47, v13
	v_sub_f16_e32 v5, v10, v12
	v_fmamk_f16 v10, v36, 0xbbad, v38
	v_mul_f16_e32 v12, 0xbbad, v0
	v_fmac_f16_e32 v39, 0x3beb, v13
	v_fmac_f16_e32 v40, 0xb853, v13
	v_add_f16_e32 v13, v35, v23
	v_add_f16_e32 v1, v1, v15
	;; [unrolled: 1-line block ×4, first 2 shown]
	v_fmamk_f16 v10, v5, 0x3482, v12
	v_mul_f16_e32 v15, 0x3853, v33
	v_fma_f16 v18, v36, 0xbbad, -v38
	v_fmac_f16_e32 v12, 0xb482, v5
	v_mul_f16_e32 v23, 0x3abb, v0
	v_add_f16_e32 v4, v10, v4
	v_fmamk_f16 v10, v36, 0x3abb, v15
	v_add_f16_e32 v6, v18, v6
	v_add_f16_e32 v12, v12, v14
	v_fmamk_f16 v14, v5, 0xb853, v23
	v_mul_f16_e32 v18, 0xba0c, v33
	v_add_f16_e32 v19, v39, v19
	v_fma_f16 v15, v36, 0x3abb, -v15
	v_fmac_f16_e32 v23, 0x3853, v5
	v_add_f16_e32 v10, v10, v17
	v_add_f16_e32 v14, v14, v20
	v_fmamk_f16 v17, v36, 0xb93d, v18
	v_mul_f16_e32 v20, 0xb93d, v0
	v_add_f16_e32 v9, v15, v9
	v_add_f16_e32 v15, v23, v19
	v_mul_f16_e32 v19, 0x3b47, v33
	v_add_f16_e32 v17, v17, v22
	v_fmamk_f16 v22, v5, 0x3a0c, v20
	v_add_f16_e32 v32, v40, v32
	v_fma_f16 v18, v36, 0xb93d, -v18
	v_fmac_f16_e32 v20, 0xba0c, v5
	v_fmamk_f16 v23, v36, 0x36a6, v19
	v_mul_f16_e32 v35, 0x36a6, v0
	v_add_f16_e32 v22, v22, v24
	v_fma_f16 v19, v36, 0x36a6, -v19
	v_mul_f16_e32 v24, 0xbbeb, v33
	v_mul_f16_e32 v0, 0xb08e, v0
	v_add_f16_e32 v16, v18, v16
	v_add_f16_e32 v18, v20, v32
	;; [unrolled: 1-line block ×3, first 2 shown]
	v_fmamk_f16 v23, v5, 0xbb47, v35
	v_add_f16_e32 v19, v19, v26
	v_fmamk_f16 v25, v36, 0xb08e, v24
	v_fmamk_f16 v26, v5, 0x3beb, v0
	v_fma_f16 v24, v36, 0xb08e, -v24
	v_fmac_f16_e32 v0, 0xbbeb, v5
	v_fmac_f16_e32 v35, 0x3b47, v5
	v_pack_b32_f16 v5, v7, v11
	v_add_f16_e32 v21, v23, v21
	v_add_f16_e32 v7, v25, v34
	;; [unrolled: 1-line block ×6, first 2 shown]
	ds_write_b32 v31, v5
	v_pack_b32_f16 v4, v3, v4
	v_pack_b32_f16 v5, v10, v14
	v_add_nc_u32_e32 v3, 0x200, v31
	v_add_nc_u32_e32 v2, 0x400, v31
	v_pack_b32_f16 v10, v17, v22
	v_pack_b32_f16 v13, v20, v21
	;; [unrolled: 1-line block ×8, first 2 shown]
	ds_write2_b32 v31, v4, v5 offset0:34 offset1:68
	ds_write2_b32 v31, v10, v13 offset0:102 offset1:136
	;; [unrolled: 1-line block ×5, first 2 shown]
	s_waitcnt lgkmcnt(0)
	s_barrier
	buffer_gl0_inv
	s_and_b32 exec_lo, exec_lo, vcc_lo
	s_cbranch_execz .LBB0_23
; %bb.22:
	global_load_dword v0, v28, s[12:13]
	ds_read_b32 v1, v31
	s_mov_b32 s8, 0xb8d015e7
	s_mov_b32 s9, 0x3f65e75b
	v_mad_u64_u32 v[9:10], null, s4, v29, 0
	s_mul_hi_u32 s3, s4, 0x58
	s_waitcnt lgkmcnt(0)
	v_lshrrev_b32_e32 v4, 16, v1
	s_waitcnt vmcnt(0)
	v_mul_f16_sdwa v5, v4, v0 dst_sel:DWORD dst_unused:UNUSED_PAD src0_sel:DWORD src1_sel:WORD_1
	v_mul_f16_sdwa v6, v1, v0 dst_sel:DWORD dst_unused:UNUSED_PAD src0_sel:DWORD src1_sel:WORD_1
	v_fmac_f16_e32 v5, v1, v0
	v_fma_f16 v0, v0, v4, -v6
	v_mad_u64_u32 v[6:7], null, s6, v8, 0
	s_mul_i32 s6, s4, 0x58
	v_cvt_f32_f16_e32 v1, v5
	v_cvt_f32_f16_e32 v4, v0
	v_mad_u64_u32 v[7:8], null, s7, v8, v[7:8]
	v_cvt_f64_f32_e32 v[0:1], v1
	v_cvt_f64_f32_e32 v[4:5], v4
	v_lshlrev_b64 v[6:7], 2, v[6:7]
	v_mul_f64 v[0:1], v[0:1], s[8:9]
	v_mul_f64 v[4:5], v[4:5], s[8:9]
	v_and_or_b32 v0, 0x1ff, v1, v0
	v_and_or_b32 v4, 0x1ff, v5, v4
	v_lshrrev_b32_e32 v11, 8, v1
	v_bfe_u32 v12, v1, 20, 11
	v_bfe_u32 v14, v5, 20, 11
	v_cmp_ne_u32_e32 vcc_lo, 0, v0
	v_lshrrev_b32_e32 v13, 8, v5
	v_mov_b32_e32 v0, v10
	v_sub_nc_u32_e32 v10, 0x3f1, v12
	v_sub_nc_u32_e32 v16, 0x3f1, v14
	v_cndmask_b32_e64 v15, 0, 1, vcc_lo
	v_cmp_ne_u32_e32 vcc_lo, 0, v4
	v_add_nc_u32_e32 v12, 0xfffffc10, v12
	v_med3_i32 v8, v10, 0, 13
	v_add_nc_u32_e32 v14, 0xfffffc10, v14
	v_and_or_b32 v15, 0xffe, v11, v15
	v_cndmask_b32_e64 v4, 0, 1, vcc_lo
	v_mad_u64_u32 v[10:11], null, s5, v29, v[0:1]
	v_lshrrev_b32_e32 v1, 16, v1
	v_lshrrev_b32_e32 v5, 16, v5
	v_and_or_b32 v4, 0xffe, v13, v4
	v_med3_i32 v13, v16, 0, 13
	v_or_b32_e32 v16, 0x1000, v15
	v_or_b32_e32 v17, 0x1000, v4
	v_lshrrev_b32_e32 v0, v8, v16
	v_lshrrev_b32_e32 v11, v13, v17
	v_lshlrev_b32_e32 v8, v8, v0
	v_lshlrev_b32_e32 v13, v13, v11
	v_cmp_ne_u32_e32 vcc_lo, v8, v16
	v_lshl_or_b32 v16, v12, 12, v15
	v_cndmask_b32_e64 v8, 0, 1, vcc_lo
	v_cmp_ne_u32_e32 vcc_lo, v13, v17
	v_or_b32_e32 v0, v0, v8
	v_cndmask_b32_e64 v13, 0, 1, vcc_lo
	v_cmp_gt_i32_e32 vcc_lo, 1, v12
	v_lshl_or_b32 v8, v14, 12, v4
	v_or_b32_e32 v11, v11, v13
	v_cndmask_b32_e32 v0, v16, v0, vcc_lo
	v_cmp_gt_i32_e32 vcc_lo, 1, v14
	v_and_b32_e32 v13, 7, v0
	v_cndmask_b32_e32 v8, v8, v11, vcc_lo
	v_cmp_ne_u32_e32 vcc_lo, 0, v15
	v_lshrrev_b32_e32 v0, 2, v0
	v_cmp_eq_u32_e64 s0, 3, v13
	v_and_b32_e32 v15, 7, v8
	v_cndmask_b32_e64 v11, 0, 1, vcc_lo
	v_cmp_ne_u32_e32 vcc_lo, 0, v4
	v_lshrrev_b32_e32 v8, 2, v8
	v_cmp_lt_i32_e64 s1, 5, v15
	v_cmp_eq_u32_e64 s2, 3, v15
	v_cndmask_b32_e64 v4, 0, 1, vcc_lo
	v_cmp_lt_i32_e32 vcc_lo, 5, v13
	v_lshl_or_b32 v11, v11, 9, 0x7c00
	v_lshl_or_b32 v4, v4, 9, 0x7c00
	s_or_b32 vcc_lo, s0, vcc_lo
	v_add_co_ci_u32_e32 v0, vcc_lo, 0, v0, vcc_lo
	s_or_b32 vcc_lo, s2, s1
	v_add_co_ci_u32_e32 v8, vcc_lo, 0, v8, vcc_lo
	v_cmp_gt_i32_e32 vcc_lo, 31, v12
	v_cndmask_b32_e32 v0, 0x7c00, v0, vcc_lo
	v_cmp_gt_i32_e32 vcc_lo, 31, v14
	v_cndmask_b32_e32 v13, 0x7c00, v8, vcc_lo
	v_cmp_eq_u32_e32 vcc_lo, 0x40f, v12
	v_lshlrev_b64 v[8:9], 2, v[9:10]
	v_cndmask_b32_e32 v0, v0, v11, vcc_lo
	v_cmp_eq_u32_e32 vcc_lo, 0x40f, v14
	v_and_or_b32 v10, 0x8000, v1, v0
	v_cndmask_b32_e32 v4, v13, v4, vcc_lo
	v_add_co_u32 v0, vcc_lo, s14, v6
	v_add_co_ci_u32_e32 v1, vcc_lo, s15, v7, vcc_lo
	v_and_or_b32 v6, 0x8000, v5, v4
	v_and_b32_e32 v7, 0xffff, v10
	v_add_co_u32 v4, vcc_lo, v0, v8
	v_add_co_ci_u32_e32 v5, vcc_lo, v1, v9, vcc_lo
	v_lshl_or_b32 v6, v6, 16, v7
	global_store_dword v[4:5], v6, off
	global_load_dword v8, v28, s[12:13] offset:88
	ds_read2_b32 v[6:7], v31 offset0:22 offset1:44
	s_waitcnt lgkmcnt(0)
	v_lshrrev_b32_e32 v9, 16, v6
	s_waitcnt vmcnt(0)
	v_mul_f16_sdwa v10, v9, v8 dst_sel:DWORD dst_unused:UNUSED_PAD src0_sel:DWORD src1_sel:WORD_1
	v_mul_f16_sdwa v11, v6, v8 dst_sel:DWORD dst_unused:UNUSED_PAD src0_sel:DWORD src1_sel:WORD_1
	v_fmac_f16_e32 v10, v6, v8
	v_fma_f16 v6, v8, v9, -v11
	v_cvt_f32_f16_e32 v8, v10
	v_cvt_f32_f16_e32 v6, v6
	v_cvt_f64_f32_e32 v[8:9], v8
	v_cvt_f64_f32_e32 v[10:11], v6
	v_mul_f64 v[8:9], v[8:9], s[8:9]
	v_mul_f64 v[10:11], v[10:11], s[8:9]
	v_and_or_b32 v6, 0x1ff, v9, v8
	v_and_or_b32 v10, 0x1ff, v11, v10
	v_lshrrev_b32_e32 v8, 8, v9
	v_bfe_u32 v12, v9, 20, 11
	v_lshrrev_b32_e32 v13, 8, v11
	v_cmp_ne_u32_e32 vcc_lo, 0, v6
	v_bfe_u32 v14, v11, 20, 11
	v_lshrrev_b32_e32 v9, 16, v9
	v_sub_nc_u32_e32 v15, 0x3f1, v12
	v_add_nc_u32_e32 v12, 0xfffffc10, v12
	v_cndmask_b32_e64 v6, 0, 1, vcc_lo
	v_cmp_ne_u32_e32 vcc_lo, 0, v10
	v_lshrrev_b32_e32 v11, 16, v11
	v_and_or_b32 v6, 0xffe, v8, v6
	v_cndmask_b32_e64 v10, 0, 1, vcc_lo
	v_sub_nc_u32_e32 v8, 0x3f1, v14
	v_add_nc_u32_e32 v14, 0xfffffc10, v14
	v_and_or_b32 v10, 0xffe, v13, v10
	v_med3_i32 v13, v15, 0, 13
	v_or_b32_e32 v15, 0x1000, v6
	v_med3_i32 v8, v8, 0, 13
	v_or_b32_e32 v16, 0x1000, v10
	v_lshrrev_b32_e32 v17, v13, v15
	v_lshrrev_b32_e32 v18, v8, v16
	v_lshlrev_b32_e32 v13, v13, v17
	v_lshlrev_b32_e32 v8, v8, v18
	v_cmp_ne_u32_e32 vcc_lo, v13, v15
	v_lshl_or_b32 v15, v12, 12, v6
	v_cndmask_b32_e64 v13, 0, 1, vcc_lo
	v_cmp_ne_u32_e32 vcc_lo, v8, v16
	v_lshl_or_b32 v16, v14, 12, v10
	v_or_b32_e32 v13, v17, v13
	v_cndmask_b32_e64 v8, 0, 1, vcc_lo
	v_cmp_gt_i32_e32 vcc_lo, 1, v12
	v_or_b32_e32 v8, v18, v8
	v_cndmask_b32_e32 v13, v15, v13, vcc_lo
	v_cmp_gt_i32_e32 vcc_lo, 1, v14
	v_and_b32_e32 v15, 7, v13
	v_cndmask_b32_e32 v8, v16, v8, vcc_lo
	v_cmp_ne_u32_e32 vcc_lo, 0, v6
	v_lshrrev_b32_e32 v13, 2, v13
	v_cmp_eq_u32_e64 s0, 3, v15
	v_and_b32_e32 v16, 7, v8
	v_cndmask_b32_e64 v6, 0, 1, vcc_lo
	v_cmp_ne_u32_e32 vcc_lo, 0, v10
	v_lshrrev_b32_e32 v8, 2, v8
	v_cmp_lt_i32_e64 s1, 5, v16
	v_cmp_eq_u32_e64 s2, 3, v16
	v_cndmask_b32_e64 v10, 0, 1, vcc_lo
	v_cmp_lt_i32_e32 vcc_lo, 5, v15
	v_lshl_or_b32 v6, v6, 9, 0x7c00
	v_lshl_or_b32 v10, v10, 9, 0x7c00
	s_or_b32 vcc_lo, s0, vcc_lo
	s_mul_i32 s0, s5, 0x58
	v_add_co_ci_u32_e32 v13, vcc_lo, 0, v13, vcc_lo
	s_or_b32 vcc_lo, s2, s1
	s_add_i32 s3, s3, s0
	v_add_co_ci_u32_e32 v8, vcc_lo, 0, v8, vcc_lo
	v_cmp_gt_i32_e32 vcc_lo, 31, v12
	v_cndmask_b32_e32 v13, 0x7c00, v13, vcc_lo
	v_cmp_gt_i32_e32 vcc_lo, 31, v14
	v_cndmask_b32_e32 v8, 0x7c00, v8, vcc_lo
	v_cmp_eq_u32_e32 vcc_lo, 0x40f, v12
	v_cndmask_b32_e32 v6, v13, v6, vcc_lo
	v_cmp_eq_u32_e32 vcc_lo, 0x40f, v14
	v_and_or_b32 v6, 0x8000, v9, v6
	v_cndmask_b32_e32 v8, v8, v10, vcc_lo
	v_add_co_u32 v4, vcc_lo, v4, s6
	v_add_co_ci_u32_e32 v5, vcc_lo, s3, v5, vcc_lo
	v_and_or_b32 v8, 0x8000, v11, v8
	v_and_b32_e32 v6, 0xffff, v6
	v_lshl_or_b32 v6, v8, 16, v6
	v_lshrrev_b32_e32 v8, 16, v7
	global_store_dword v[4:5], v6, off
	global_load_dword v6, v28, s[12:13] offset:176
	s_waitcnt vmcnt(0)
	v_mul_f16_sdwa v9, v8, v6 dst_sel:DWORD dst_unused:UNUSED_PAD src0_sel:DWORD src1_sel:WORD_1
	v_mul_f16_sdwa v10, v7, v6 dst_sel:DWORD dst_unused:UNUSED_PAD src0_sel:DWORD src1_sel:WORD_1
	v_fmac_f16_e32 v9, v7, v6
	v_fma_f16 v6, v6, v8, -v10
	v_cvt_f32_f16_e32 v7, v9
	v_cvt_f32_f16_e32 v8, v6
	v_cvt_f64_f32_e32 v[6:7], v7
	v_cvt_f64_f32_e32 v[8:9], v8
	v_mul_f64 v[6:7], v[6:7], s[8:9]
	v_mul_f64 v[8:9], v[8:9], s[8:9]
	v_and_or_b32 v6, 0x1ff, v7, v6
	v_and_or_b32 v8, 0x1ff, v9, v8
	v_lshrrev_b32_e32 v10, 8, v7
	v_bfe_u32 v11, v7, 20, 11
	v_lshrrev_b32_e32 v12, 8, v9
	v_cmp_ne_u32_e32 vcc_lo, 0, v6
	v_bfe_u32 v13, v9, 20, 11
	v_lshrrev_b32_e32 v7, 16, v7
	v_sub_nc_u32_e32 v14, 0x3f1, v11
	v_add_nc_u32_e32 v11, 0xfffffc10, v11
	v_cndmask_b32_e64 v6, 0, 1, vcc_lo
	v_cmp_ne_u32_e32 vcc_lo, 0, v8
	v_lshrrev_b32_e32 v9, 16, v9
	v_and_or_b32 v6, 0xffe, v10, v6
	v_cndmask_b32_e64 v8, 0, 1, vcc_lo
	v_sub_nc_u32_e32 v10, 0x3f1, v13
	v_add_nc_u32_e32 v13, 0xfffffc10, v13
	v_and_or_b32 v8, 0xffe, v12, v8
	v_med3_i32 v12, v14, 0, 13
	v_or_b32_e32 v14, 0x1000, v6
	v_med3_i32 v10, v10, 0, 13
	v_or_b32_e32 v15, 0x1000, v8
	v_lshrrev_b32_e32 v16, v12, v14
	v_lshrrev_b32_e32 v17, v10, v15
	v_lshlrev_b32_e32 v12, v12, v16
	v_lshlrev_b32_e32 v10, v10, v17
	v_cmp_ne_u32_e32 vcc_lo, v12, v14
	v_lshl_or_b32 v14, v11, 12, v6
	v_cndmask_b32_e64 v12, 0, 1, vcc_lo
	v_cmp_ne_u32_e32 vcc_lo, v10, v15
	v_lshl_or_b32 v15, v13, 12, v8
	v_or_b32_e32 v12, v16, v12
	v_cndmask_b32_e64 v10, 0, 1, vcc_lo
	v_cmp_gt_i32_e32 vcc_lo, 1, v11
	v_or_b32_e32 v10, v17, v10
	v_cndmask_b32_e32 v12, v14, v12, vcc_lo
	v_cmp_gt_i32_e32 vcc_lo, 1, v13
	v_and_b32_e32 v14, 7, v12
	v_cndmask_b32_e32 v10, v15, v10, vcc_lo
	v_cmp_ne_u32_e32 vcc_lo, 0, v6
	v_lshrrev_b32_e32 v12, 2, v12
	v_cmp_eq_u32_e64 s0, 3, v14
	v_and_b32_e32 v15, 7, v10
	v_cndmask_b32_e64 v6, 0, 1, vcc_lo
	v_cmp_ne_u32_e32 vcc_lo, 0, v8
	v_lshrrev_b32_e32 v10, 2, v10
	v_cmp_lt_i32_e64 s1, 5, v15
	v_cmp_eq_u32_e64 s2, 3, v15
	v_cndmask_b32_e64 v8, 0, 1, vcc_lo
	v_cmp_lt_i32_e32 vcc_lo, 5, v14
	v_lshl_or_b32 v6, v6, 9, 0x7c00
	v_lshl_or_b32 v8, v8, 9, 0x7c00
	s_or_b32 vcc_lo, s0, vcc_lo
	v_add_co_ci_u32_e32 v12, vcc_lo, 0, v12, vcc_lo
	s_or_b32 vcc_lo, s2, s1
	v_add_co_ci_u32_e32 v10, vcc_lo, 0, v10, vcc_lo
	v_cmp_gt_i32_e32 vcc_lo, 31, v11
	v_cndmask_b32_e32 v12, 0x7c00, v12, vcc_lo
	v_cmp_gt_i32_e32 vcc_lo, 31, v13
	v_cndmask_b32_e32 v10, 0x7c00, v10, vcc_lo
	v_cmp_eq_u32_e32 vcc_lo, 0x40f, v11
	v_cndmask_b32_e32 v6, v12, v6, vcc_lo
	v_cmp_eq_u32_e32 vcc_lo, 0x40f, v13
	v_and_or_b32 v6, 0x8000, v7, v6
	v_cndmask_b32_e32 v8, v10, v8, vcc_lo
	v_add_co_u32 v4, vcc_lo, v4, s6
	v_add_co_ci_u32_e32 v5, vcc_lo, s3, v5, vcc_lo
	v_and_or_b32 v7, 0x8000, v9, v8
	v_and_b32_e32 v6, 0xffff, v6
	v_lshl_or_b32 v6, v7, 16, v6
	global_store_dword v[4:5], v6, off
	global_load_dword v8, v28, s[12:13] offset:264
	ds_read2_b32 v[6:7], v31 offset0:66 offset1:88
	s_waitcnt lgkmcnt(0)
	v_lshrrev_b32_e32 v9, 16, v6
	s_waitcnt vmcnt(0)
	v_mul_f16_sdwa v10, v9, v8 dst_sel:DWORD dst_unused:UNUSED_PAD src0_sel:DWORD src1_sel:WORD_1
	v_mul_f16_sdwa v11, v6, v8 dst_sel:DWORD dst_unused:UNUSED_PAD src0_sel:DWORD src1_sel:WORD_1
	v_fmac_f16_e32 v10, v6, v8
	v_fma_f16 v6, v8, v9, -v11
	v_cvt_f32_f16_e32 v8, v10
	v_cvt_f32_f16_e32 v6, v6
	v_cvt_f64_f32_e32 v[8:9], v8
	v_cvt_f64_f32_e32 v[10:11], v6
	v_mul_f64 v[8:9], v[8:9], s[8:9]
	v_mul_f64 v[10:11], v[10:11], s[8:9]
	v_and_or_b32 v6, 0x1ff, v9, v8
	v_and_or_b32 v10, 0x1ff, v11, v10
	v_lshrrev_b32_e32 v8, 8, v9
	v_bfe_u32 v12, v9, 20, 11
	v_lshrrev_b32_e32 v13, 8, v11
	v_cmp_ne_u32_e32 vcc_lo, 0, v6
	v_bfe_u32 v14, v11, 20, 11
	v_lshrrev_b32_e32 v9, 16, v9
	v_sub_nc_u32_e32 v15, 0x3f1, v12
	v_add_nc_u32_e32 v12, 0xfffffc10, v12
	v_cndmask_b32_e64 v6, 0, 1, vcc_lo
	v_cmp_ne_u32_e32 vcc_lo, 0, v10
	v_lshrrev_b32_e32 v11, 16, v11
	v_and_or_b32 v6, 0xffe, v8, v6
	v_cndmask_b32_e64 v10, 0, 1, vcc_lo
	v_sub_nc_u32_e32 v8, 0x3f1, v14
	v_add_nc_u32_e32 v14, 0xfffffc10, v14
	v_and_or_b32 v10, 0xffe, v13, v10
	v_med3_i32 v13, v15, 0, 13
	v_or_b32_e32 v15, 0x1000, v6
	v_med3_i32 v8, v8, 0, 13
	v_or_b32_e32 v16, 0x1000, v10
	v_lshrrev_b32_e32 v17, v13, v15
	v_lshrrev_b32_e32 v18, v8, v16
	v_lshlrev_b32_e32 v13, v13, v17
	v_lshlrev_b32_e32 v8, v8, v18
	v_cmp_ne_u32_e32 vcc_lo, v13, v15
	v_lshl_or_b32 v15, v12, 12, v6
	v_cndmask_b32_e64 v13, 0, 1, vcc_lo
	v_cmp_ne_u32_e32 vcc_lo, v8, v16
	v_lshl_or_b32 v16, v14, 12, v10
	v_or_b32_e32 v13, v17, v13
	v_cndmask_b32_e64 v8, 0, 1, vcc_lo
	v_cmp_gt_i32_e32 vcc_lo, 1, v12
	v_or_b32_e32 v8, v18, v8
	v_cndmask_b32_e32 v13, v15, v13, vcc_lo
	v_cmp_gt_i32_e32 vcc_lo, 1, v14
	v_and_b32_e32 v15, 7, v13
	v_cndmask_b32_e32 v8, v16, v8, vcc_lo
	v_cmp_ne_u32_e32 vcc_lo, 0, v6
	v_lshrrev_b32_e32 v13, 2, v13
	v_cmp_eq_u32_e64 s0, 3, v15
	v_and_b32_e32 v16, 7, v8
	v_cndmask_b32_e64 v6, 0, 1, vcc_lo
	v_cmp_ne_u32_e32 vcc_lo, 0, v10
	v_lshrrev_b32_e32 v8, 2, v8
	v_cmp_lt_i32_e64 s1, 5, v16
	v_cmp_eq_u32_e64 s2, 3, v16
	v_cndmask_b32_e64 v10, 0, 1, vcc_lo
	v_cmp_lt_i32_e32 vcc_lo, 5, v15
	v_lshl_or_b32 v6, v6, 9, 0x7c00
	v_lshl_or_b32 v10, v10, 9, 0x7c00
	s_or_b32 vcc_lo, s0, vcc_lo
	v_add_co_ci_u32_e32 v13, vcc_lo, 0, v13, vcc_lo
	s_or_b32 vcc_lo, s2, s1
	v_add_co_ci_u32_e32 v8, vcc_lo, 0, v8, vcc_lo
	v_cmp_gt_i32_e32 vcc_lo, 31, v12
	v_cndmask_b32_e32 v13, 0x7c00, v13, vcc_lo
	v_cmp_gt_i32_e32 vcc_lo, 31, v14
	v_cndmask_b32_e32 v8, 0x7c00, v8, vcc_lo
	v_cmp_eq_u32_e32 vcc_lo, 0x40f, v12
	v_cndmask_b32_e32 v6, v13, v6, vcc_lo
	v_cmp_eq_u32_e32 vcc_lo, 0x40f, v14
	v_and_or_b32 v6, 0x8000, v9, v6
	v_cndmask_b32_e32 v8, v8, v10, vcc_lo
	v_add_co_u32 v4, vcc_lo, v4, s6
	v_add_co_ci_u32_e32 v5, vcc_lo, s3, v5, vcc_lo
	v_and_or_b32 v8, 0x8000, v11, v8
	v_and_b32_e32 v6, 0xffff, v6
	v_lshl_or_b32 v6, v8, 16, v6
	v_lshrrev_b32_e32 v8, 16, v7
	global_store_dword v[4:5], v6, off
	global_load_dword v6, v28, s[12:13] offset:352
	s_waitcnt vmcnt(0)
	v_mul_f16_sdwa v9, v8, v6 dst_sel:DWORD dst_unused:UNUSED_PAD src0_sel:DWORD src1_sel:WORD_1
	v_mul_f16_sdwa v10, v7, v6 dst_sel:DWORD dst_unused:UNUSED_PAD src0_sel:DWORD src1_sel:WORD_1
	v_fmac_f16_e32 v9, v7, v6
	v_fma_f16 v6, v6, v8, -v10
	v_cvt_f32_f16_e32 v7, v9
	v_cvt_f32_f16_e32 v8, v6
	v_cvt_f64_f32_e32 v[6:7], v7
	v_cvt_f64_f32_e32 v[8:9], v8
	v_mul_f64 v[6:7], v[6:7], s[8:9]
	v_mul_f64 v[8:9], v[8:9], s[8:9]
	v_and_or_b32 v6, 0x1ff, v7, v6
	v_and_or_b32 v8, 0x1ff, v9, v8
	v_lshrrev_b32_e32 v10, 8, v7
	v_bfe_u32 v11, v7, 20, 11
	v_lshrrev_b32_e32 v12, 8, v9
	v_cmp_ne_u32_e32 vcc_lo, 0, v6
	v_bfe_u32 v13, v9, 20, 11
	v_lshrrev_b32_e32 v7, 16, v7
	v_sub_nc_u32_e32 v14, 0x3f1, v11
	v_add_nc_u32_e32 v11, 0xfffffc10, v11
	v_cndmask_b32_e64 v6, 0, 1, vcc_lo
	v_cmp_ne_u32_e32 vcc_lo, 0, v8
	v_lshrrev_b32_e32 v9, 16, v9
	v_and_or_b32 v6, 0xffe, v10, v6
	v_cndmask_b32_e64 v8, 0, 1, vcc_lo
	v_sub_nc_u32_e32 v10, 0x3f1, v13
	v_add_nc_u32_e32 v13, 0xfffffc10, v13
	v_and_or_b32 v8, 0xffe, v12, v8
	v_med3_i32 v12, v14, 0, 13
	v_or_b32_e32 v14, 0x1000, v6
	v_med3_i32 v10, v10, 0, 13
	v_or_b32_e32 v15, 0x1000, v8
	v_lshrrev_b32_e32 v16, v12, v14
	v_lshrrev_b32_e32 v17, v10, v15
	v_lshlrev_b32_e32 v12, v12, v16
	v_lshlrev_b32_e32 v10, v10, v17
	v_cmp_ne_u32_e32 vcc_lo, v12, v14
	v_lshl_or_b32 v14, v11, 12, v6
	v_cndmask_b32_e64 v12, 0, 1, vcc_lo
	v_cmp_ne_u32_e32 vcc_lo, v10, v15
	v_lshl_or_b32 v15, v13, 12, v8
	v_or_b32_e32 v12, v16, v12
	v_cndmask_b32_e64 v10, 0, 1, vcc_lo
	v_cmp_gt_i32_e32 vcc_lo, 1, v11
	v_or_b32_e32 v10, v17, v10
	v_cndmask_b32_e32 v12, v14, v12, vcc_lo
	v_cmp_gt_i32_e32 vcc_lo, 1, v13
	v_and_b32_e32 v14, 7, v12
	v_cndmask_b32_e32 v10, v15, v10, vcc_lo
	v_cmp_ne_u32_e32 vcc_lo, 0, v6
	v_lshrrev_b32_e32 v12, 2, v12
	v_cmp_eq_u32_e64 s0, 3, v14
	v_and_b32_e32 v15, 7, v10
	v_cndmask_b32_e64 v6, 0, 1, vcc_lo
	v_cmp_ne_u32_e32 vcc_lo, 0, v8
	v_lshrrev_b32_e32 v10, 2, v10
	v_cmp_lt_i32_e64 s1, 5, v15
	v_cmp_eq_u32_e64 s2, 3, v15
	v_cndmask_b32_e64 v8, 0, 1, vcc_lo
	v_cmp_lt_i32_e32 vcc_lo, 5, v14
	v_lshl_or_b32 v6, v6, 9, 0x7c00
	v_lshl_or_b32 v8, v8, 9, 0x7c00
	s_or_b32 vcc_lo, s0, vcc_lo
	v_add_co_ci_u32_e32 v12, vcc_lo, 0, v12, vcc_lo
	s_or_b32 vcc_lo, s2, s1
	v_add_co_ci_u32_e32 v10, vcc_lo, 0, v10, vcc_lo
	v_cmp_gt_i32_e32 vcc_lo, 31, v11
	v_cndmask_b32_e32 v12, 0x7c00, v12, vcc_lo
	v_cmp_gt_i32_e32 vcc_lo, 31, v13
	v_cndmask_b32_e32 v10, 0x7c00, v10, vcc_lo
	v_cmp_eq_u32_e32 vcc_lo, 0x40f, v11
	v_cndmask_b32_e32 v6, v12, v6, vcc_lo
	v_cmp_eq_u32_e32 vcc_lo, 0x40f, v13
	v_and_or_b32 v6, 0x8000, v7, v6
	v_cndmask_b32_e32 v8, v10, v8, vcc_lo
	v_add_co_u32 v4, vcc_lo, v4, s6
	v_add_co_ci_u32_e32 v5, vcc_lo, s3, v5, vcc_lo
	v_and_or_b32 v7, 0x8000, v9, v8
	v_and_b32_e32 v6, 0xffff, v6
	v_lshl_or_b32 v6, v7, 16, v6
	global_store_dword v[4:5], v6, off
	global_load_dword v8, v28, s[12:13] offset:440
	ds_read2_b32 v[6:7], v31 offset0:110 offset1:132
	s_waitcnt lgkmcnt(0)
	v_lshrrev_b32_e32 v9, 16, v6
	s_waitcnt vmcnt(0)
	v_mul_f16_sdwa v10, v9, v8 dst_sel:DWORD dst_unused:UNUSED_PAD src0_sel:DWORD src1_sel:WORD_1
	v_mul_f16_sdwa v11, v6, v8 dst_sel:DWORD dst_unused:UNUSED_PAD src0_sel:DWORD src1_sel:WORD_1
	v_fmac_f16_e32 v10, v6, v8
	v_fma_f16 v6, v8, v9, -v11
	v_cvt_f32_f16_e32 v8, v10
	v_cvt_f32_f16_e32 v6, v6
	v_cvt_f64_f32_e32 v[8:9], v8
	v_cvt_f64_f32_e32 v[10:11], v6
	v_mul_f64 v[8:9], v[8:9], s[8:9]
	v_mul_f64 v[10:11], v[10:11], s[8:9]
	v_and_or_b32 v6, 0x1ff, v9, v8
	v_and_or_b32 v10, 0x1ff, v11, v10
	v_lshrrev_b32_e32 v8, 8, v9
	v_bfe_u32 v12, v9, 20, 11
	v_lshrrev_b32_e32 v13, 8, v11
	v_cmp_ne_u32_e32 vcc_lo, 0, v6
	v_bfe_u32 v14, v11, 20, 11
	v_lshrrev_b32_e32 v9, 16, v9
	v_sub_nc_u32_e32 v15, 0x3f1, v12
	v_add_nc_u32_e32 v12, 0xfffffc10, v12
	v_cndmask_b32_e64 v6, 0, 1, vcc_lo
	v_cmp_ne_u32_e32 vcc_lo, 0, v10
	v_lshrrev_b32_e32 v11, 16, v11
	v_and_or_b32 v6, 0xffe, v8, v6
	v_cndmask_b32_e64 v10, 0, 1, vcc_lo
	v_sub_nc_u32_e32 v8, 0x3f1, v14
	v_add_nc_u32_e32 v14, 0xfffffc10, v14
	v_and_or_b32 v10, 0xffe, v13, v10
	v_med3_i32 v13, v15, 0, 13
	v_or_b32_e32 v15, 0x1000, v6
	v_med3_i32 v8, v8, 0, 13
	v_or_b32_e32 v16, 0x1000, v10
	v_lshrrev_b32_e32 v17, v13, v15
	v_lshrrev_b32_e32 v18, v8, v16
	v_lshlrev_b32_e32 v13, v13, v17
	v_lshlrev_b32_e32 v8, v8, v18
	v_cmp_ne_u32_e32 vcc_lo, v13, v15
	v_lshl_or_b32 v15, v12, 12, v6
	v_cndmask_b32_e64 v13, 0, 1, vcc_lo
	v_cmp_ne_u32_e32 vcc_lo, v8, v16
	v_lshl_or_b32 v16, v14, 12, v10
	v_or_b32_e32 v13, v17, v13
	v_cndmask_b32_e64 v8, 0, 1, vcc_lo
	v_cmp_gt_i32_e32 vcc_lo, 1, v12
	v_or_b32_e32 v8, v18, v8
	v_cndmask_b32_e32 v13, v15, v13, vcc_lo
	v_cmp_gt_i32_e32 vcc_lo, 1, v14
	v_and_b32_e32 v15, 7, v13
	v_cndmask_b32_e32 v8, v16, v8, vcc_lo
	v_cmp_ne_u32_e32 vcc_lo, 0, v6
	v_lshrrev_b32_e32 v13, 2, v13
	v_cmp_eq_u32_e64 s0, 3, v15
	v_and_b32_e32 v16, 7, v8
	v_cndmask_b32_e64 v6, 0, 1, vcc_lo
	v_cmp_ne_u32_e32 vcc_lo, 0, v10
	v_lshrrev_b32_e32 v8, 2, v8
	v_cmp_lt_i32_e64 s1, 5, v16
	v_cmp_eq_u32_e64 s2, 3, v16
	v_cndmask_b32_e64 v10, 0, 1, vcc_lo
	v_cmp_lt_i32_e32 vcc_lo, 5, v15
	v_lshl_or_b32 v6, v6, 9, 0x7c00
	v_lshl_or_b32 v10, v10, 9, 0x7c00
	s_or_b32 vcc_lo, s0, vcc_lo
	v_add_co_ci_u32_e32 v13, vcc_lo, 0, v13, vcc_lo
	s_or_b32 vcc_lo, s2, s1
	v_add_co_ci_u32_e32 v8, vcc_lo, 0, v8, vcc_lo
	v_cmp_gt_i32_e32 vcc_lo, 31, v12
	v_cndmask_b32_e32 v13, 0x7c00, v13, vcc_lo
	v_cmp_gt_i32_e32 vcc_lo, 31, v14
	v_cndmask_b32_e32 v8, 0x7c00, v8, vcc_lo
	v_cmp_eq_u32_e32 vcc_lo, 0x40f, v12
	v_cndmask_b32_e32 v6, v13, v6, vcc_lo
	v_cmp_eq_u32_e32 vcc_lo, 0x40f, v14
	v_and_or_b32 v6, 0x8000, v9, v6
	v_cndmask_b32_e32 v8, v8, v10, vcc_lo
	v_add_co_u32 v4, vcc_lo, v4, s6
	v_add_co_ci_u32_e32 v5, vcc_lo, s3, v5, vcc_lo
	v_and_or_b32 v8, 0x8000, v11, v8
	v_and_b32_e32 v6, 0xffff, v6
	v_lshl_or_b32 v6, v8, 16, v6
	v_lshrrev_b32_e32 v8, 16, v7
	global_store_dword v[4:5], v6, off
	global_load_dword v6, v28, s[12:13] offset:528
	s_waitcnt vmcnt(0)
	v_mul_f16_sdwa v9, v8, v6 dst_sel:DWORD dst_unused:UNUSED_PAD src0_sel:DWORD src1_sel:WORD_1
	v_mul_f16_sdwa v10, v7, v6 dst_sel:DWORD dst_unused:UNUSED_PAD src0_sel:DWORD src1_sel:WORD_1
	v_fmac_f16_e32 v9, v7, v6
	v_fma_f16 v6, v6, v8, -v10
	v_cvt_f32_f16_e32 v7, v9
	v_cvt_f32_f16_e32 v8, v6
	v_cvt_f64_f32_e32 v[6:7], v7
	v_cvt_f64_f32_e32 v[8:9], v8
	v_mul_f64 v[6:7], v[6:7], s[8:9]
	v_mul_f64 v[8:9], v[8:9], s[8:9]
	v_and_or_b32 v6, 0x1ff, v7, v6
	v_and_or_b32 v8, 0x1ff, v9, v8
	v_lshrrev_b32_e32 v10, 8, v7
	v_bfe_u32 v11, v7, 20, 11
	v_lshrrev_b32_e32 v12, 8, v9
	v_cmp_ne_u32_e32 vcc_lo, 0, v6
	v_bfe_u32 v13, v9, 20, 11
	v_lshrrev_b32_e32 v7, 16, v7
	v_sub_nc_u32_e32 v14, 0x3f1, v11
	v_add_nc_u32_e32 v11, 0xfffffc10, v11
	v_cndmask_b32_e64 v6, 0, 1, vcc_lo
	v_cmp_ne_u32_e32 vcc_lo, 0, v8
	v_lshrrev_b32_e32 v9, 16, v9
	v_and_or_b32 v6, 0xffe, v10, v6
	v_cndmask_b32_e64 v8, 0, 1, vcc_lo
	v_sub_nc_u32_e32 v10, 0x3f1, v13
	v_add_nc_u32_e32 v13, 0xfffffc10, v13
	v_and_or_b32 v8, 0xffe, v12, v8
	v_med3_i32 v12, v14, 0, 13
	v_or_b32_e32 v14, 0x1000, v6
	v_med3_i32 v10, v10, 0, 13
	v_or_b32_e32 v15, 0x1000, v8
	v_lshrrev_b32_e32 v16, v12, v14
	v_lshrrev_b32_e32 v17, v10, v15
	v_lshlrev_b32_e32 v12, v12, v16
	v_lshlrev_b32_e32 v10, v10, v17
	v_cmp_ne_u32_e32 vcc_lo, v12, v14
	v_lshl_or_b32 v14, v11, 12, v6
	v_cndmask_b32_e64 v12, 0, 1, vcc_lo
	v_cmp_ne_u32_e32 vcc_lo, v10, v15
	v_lshl_or_b32 v15, v13, 12, v8
	v_or_b32_e32 v12, v16, v12
	v_cndmask_b32_e64 v10, 0, 1, vcc_lo
	v_cmp_gt_i32_e32 vcc_lo, 1, v11
	v_or_b32_e32 v10, v17, v10
	v_cndmask_b32_e32 v12, v14, v12, vcc_lo
	v_cmp_gt_i32_e32 vcc_lo, 1, v13
	v_and_b32_e32 v14, 7, v12
	v_cndmask_b32_e32 v10, v15, v10, vcc_lo
	v_cmp_ne_u32_e32 vcc_lo, 0, v6
	v_lshrrev_b32_e32 v12, 2, v12
	v_cmp_eq_u32_e64 s0, 3, v14
	v_and_b32_e32 v15, 7, v10
	v_cndmask_b32_e64 v6, 0, 1, vcc_lo
	v_cmp_ne_u32_e32 vcc_lo, 0, v8
	v_lshrrev_b32_e32 v10, 2, v10
	v_cmp_lt_i32_e64 s1, 5, v15
	v_cmp_eq_u32_e64 s2, 3, v15
	v_cndmask_b32_e64 v8, 0, 1, vcc_lo
	v_cmp_lt_i32_e32 vcc_lo, 5, v14
	v_lshl_or_b32 v6, v6, 9, 0x7c00
	v_lshl_or_b32 v8, v8, 9, 0x7c00
	s_or_b32 vcc_lo, s0, vcc_lo
	v_add_co_ci_u32_e32 v12, vcc_lo, 0, v12, vcc_lo
	s_or_b32 vcc_lo, s2, s1
	v_add_co_ci_u32_e32 v10, vcc_lo, 0, v10, vcc_lo
	v_cmp_gt_i32_e32 vcc_lo, 31, v11
	v_cndmask_b32_e32 v12, 0x7c00, v12, vcc_lo
	v_cmp_gt_i32_e32 vcc_lo, 31, v13
	v_cndmask_b32_e32 v10, 0x7c00, v10, vcc_lo
	v_cmp_eq_u32_e32 vcc_lo, 0x40f, v11
	v_cndmask_b32_e32 v6, v12, v6, vcc_lo
	v_cmp_eq_u32_e32 vcc_lo, 0x40f, v13
	v_and_or_b32 v6, 0x8000, v7, v6
	v_cndmask_b32_e32 v8, v10, v8, vcc_lo
	v_add_co_u32 v4, vcc_lo, v4, s6
	v_add_co_ci_u32_e32 v5, vcc_lo, s3, v5, vcc_lo
	v_and_or_b32 v7, 0x8000, v9, v8
	v_and_b32_e32 v6, 0xffff, v6
	v_lshl_or_b32 v6, v7, 16, v6
	global_store_dword v[4:5], v6, off
	global_load_dword v8, v28, s[12:13] offset:616
	ds_read2_b32 v[6:7], v31 offset0:154 offset1:176
	s_waitcnt lgkmcnt(0)
	v_lshrrev_b32_e32 v9, 16, v6
	s_waitcnt vmcnt(0)
	v_mul_f16_sdwa v10, v9, v8 dst_sel:DWORD dst_unused:UNUSED_PAD src0_sel:DWORD src1_sel:WORD_1
	v_mul_f16_sdwa v11, v6, v8 dst_sel:DWORD dst_unused:UNUSED_PAD src0_sel:DWORD src1_sel:WORD_1
	v_fmac_f16_e32 v10, v6, v8
	v_fma_f16 v6, v8, v9, -v11
	v_cvt_f32_f16_e32 v8, v10
	v_cvt_f32_f16_e32 v6, v6
	v_cvt_f64_f32_e32 v[8:9], v8
	v_cvt_f64_f32_e32 v[10:11], v6
	v_mul_f64 v[8:9], v[8:9], s[8:9]
	v_mul_f64 v[10:11], v[10:11], s[8:9]
	v_and_or_b32 v6, 0x1ff, v9, v8
	v_and_or_b32 v10, 0x1ff, v11, v10
	v_lshrrev_b32_e32 v8, 8, v9
	v_bfe_u32 v12, v9, 20, 11
	v_lshrrev_b32_e32 v13, 8, v11
	v_cmp_ne_u32_e32 vcc_lo, 0, v6
	v_bfe_u32 v14, v11, 20, 11
	v_lshrrev_b32_e32 v9, 16, v9
	v_sub_nc_u32_e32 v15, 0x3f1, v12
	v_add_nc_u32_e32 v12, 0xfffffc10, v12
	v_cndmask_b32_e64 v6, 0, 1, vcc_lo
	v_cmp_ne_u32_e32 vcc_lo, 0, v10
	v_lshrrev_b32_e32 v11, 16, v11
	v_and_or_b32 v6, 0xffe, v8, v6
	v_cndmask_b32_e64 v10, 0, 1, vcc_lo
	v_sub_nc_u32_e32 v8, 0x3f1, v14
	v_add_nc_u32_e32 v14, 0xfffffc10, v14
	v_and_or_b32 v10, 0xffe, v13, v10
	v_med3_i32 v13, v15, 0, 13
	v_or_b32_e32 v15, 0x1000, v6
	v_med3_i32 v8, v8, 0, 13
	v_or_b32_e32 v16, 0x1000, v10
	v_lshrrev_b32_e32 v17, v13, v15
	v_lshrrev_b32_e32 v18, v8, v16
	v_lshlrev_b32_e32 v13, v13, v17
	v_lshlrev_b32_e32 v8, v8, v18
	v_cmp_ne_u32_e32 vcc_lo, v13, v15
	v_lshl_or_b32 v15, v12, 12, v6
	v_cndmask_b32_e64 v13, 0, 1, vcc_lo
	v_cmp_ne_u32_e32 vcc_lo, v8, v16
	v_lshl_or_b32 v16, v14, 12, v10
	v_or_b32_e32 v13, v17, v13
	v_cndmask_b32_e64 v8, 0, 1, vcc_lo
	v_cmp_gt_i32_e32 vcc_lo, 1, v12
	v_or_b32_e32 v8, v18, v8
	v_cndmask_b32_e32 v13, v15, v13, vcc_lo
	v_cmp_gt_i32_e32 vcc_lo, 1, v14
	v_and_b32_e32 v15, 7, v13
	v_cndmask_b32_e32 v8, v16, v8, vcc_lo
	v_cmp_ne_u32_e32 vcc_lo, 0, v6
	v_lshrrev_b32_e32 v13, 2, v13
	v_cmp_eq_u32_e64 s0, 3, v15
	v_and_b32_e32 v16, 7, v8
	v_cndmask_b32_e64 v6, 0, 1, vcc_lo
	v_cmp_ne_u32_e32 vcc_lo, 0, v10
	v_lshrrev_b32_e32 v8, 2, v8
	v_cmp_lt_i32_e64 s1, 5, v16
	v_cmp_eq_u32_e64 s2, 3, v16
	v_cndmask_b32_e64 v10, 0, 1, vcc_lo
	v_cmp_lt_i32_e32 vcc_lo, 5, v15
	v_lshl_or_b32 v6, v6, 9, 0x7c00
	v_lshl_or_b32 v10, v10, 9, 0x7c00
	s_or_b32 vcc_lo, s0, vcc_lo
	v_add_co_ci_u32_e32 v13, vcc_lo, 0, v13, vcc_lo
	s_or_b32 vcc_lo, s2, s1
	v_add_co_ci_u32_e32 v8, vcc_lo, 0, v8, vcc_lo
	v_cmp_gt_i32_e32 vcc_lo, 31, v12
	v_cndmask_b32_e32 v13, 0x7c00, v13, vcc_lo
	v_cmp_gt_i32_e32 vcc_lo, 31, v14
	v_cndmask_b32_e32 v8, 0x7c00, v8, vcc_lo
	v_cmp_eq_u32_e32 vcc_lo, 0x40f, v12
	v_cndmask_b32_e32 v6, v13, v6, vcc_lo
	v_cmp_eq_u32_e32 vcc_lo, 0x40f, v14
	v_and_or_b32 v6, 0x8000, v9, v6
	v_cndmask_b32_e32 v8, v8, v10, vcc_lo
	v_add_co_u32 v4, vcc_lo, v4, s6
	v_add_co_ci_u32_e32 v5, vcc_lo, s3, v5, vcc_lo
	v_and_or_b32 v8, 0x8000, v11, v8
	v_and_b32_e32 v6, 0xffff, v6
	v_lshl_or_b32 v6, v8, 16, v6
	v_lshrrev_b32_e32 v8, 16, v7
	global_store_dword v[4:5], v6, off
	global_load_dword v6, v28, s[12:13] offset:704
	s_waitcnt vmcnt(0)
	v_mul_f16_sdwa v9, v8, v6 dst_sel:DWORD dst_unused:UNUSED_PAD src0_sel:DWORD src1_sel:WORD_1
	v_mul_f16_sdwa v10, v7, v6 dst_sel:DWORD dst_unused:UNUSED_PAD src0_sel:DWORD src1_sel:WORD_1
	v_fmac_f16_e32 v9, v7, v6
	v_fma_f16 v6, v6, v8, -v10
	v_cvt_f32_f16_e32 v7, v9
	v_cvt_f32_f16_e32 v8, v6
	v_cvt_f64_f32_e32 v[6:7], v7
	v_cvt_f64_f32_e32 v[8:9], v8
	v_mul_f64 v[6:7], v[6:7], s[8:9]
	v_mul_f64 v[8:9], v[8:9], s[8:9]
	v_and_or_b32 v6, 0x1ff, v7, v6
	v_and_or_b32 v8, 0x1ff, v9, v8
	v_lshrrev_b32_e32 v10, 8, v7
	v_bfe_u32 v11, v7, 20, 11
	v_lshrrev_b32_e32 v12, 8, v9
	v_cmp_ne_u32_e32 vcc_lo, 0, v6
	v_bfe_u32 v13, v9, 20, 11
	v_lshrrev_b32_e32 v7, 16, v7
	v_sub_nc_u32_e32 v14, 0x3f1, v11
	v_add_nc_u32_e32 v11, 0xfffffc10, v11
	v_cndmask_b32_e64 v6, 0, 1, vcc_lo
	v_cmp_ne_u32_e32 vcc_lo, 0, v8
	v_lshrrev_b32_e32 v9, 16, v9
	v_and_or_b32 v6, 0xffe, v10, v6
	v_cndmask_b32_e64 v8, 0, 1, vcc_lo
	v_sub_nc_u32_e32 v10, 0x3f1, v13
	v_add_nc_u32_e32 v13, 0xfffffc10, v13
	v_and_or_b32 v8, 0xffe, v12, v8
	v_med3_i32 v12, v14, 0, 13
	v_or_b32_e32 v14, 0x1000, v6
	v_med3_i32 v10, v10, 0, 13
	v_or_b32_e32 v15, 0x1000, v8
	v_lshrrev_b32_e32 v16, v12, v14
	v_lshrrev_b32_e32 v17, v10, v15
	v_lshlrev_b32_e32 v12, v12, v16
	v_lshlrev_b32_e32 v10, v10, v17
	v_cmp_ne_u32_e32 vcc_lo, v12, v14
	v_lshl_or_b32 v14, v11, 12, v6
	v_cndmask_b32_e64 v12, 0, 1, vcc_lo
	v_cmp_ne_u32_e32 vcc_lo, v10, v15
	v_lshl_or_b32 v15, v13, 12, v8
	v_or_b32_e32 v12, v16, v12
	v_cndmask_b32_e64 v10, 0, 1, vcc_lo
	v_cmp_gt_i32_e32 vcc_lo, 1, v11
	v_or_b32_e32 v10, v17, v10
	v_cndmask_b32_e32 v12, v14, v12, vcc_lo
	v_cmp_gt_i32_e32 vcc_lo, 1, v13
	v_and_b32_e32 v14, 7, v12
	v_cndmask_b32_e32 v10, v15, v10, vcc_lo
	v_cmp_ne_u32_e32 vcc_lo, 0, v6
	v_lshrrev_b32_e32 v12, 2, v12
	v_cmp_eq_u32_e64 s0, 3, v14
	v_and_b32_e32 v15, 7, v10
	v_cndmask_b32_e64 v6, 0, 1, vcc_lo
	v_cmp_ne_u32_e32 vcc_lo, 0, v8
	v_lshrrev_b32_e32 v10, 2, v10
	v_cmp_lt_i32_e64 s1, 5, v15
	v_cmp_eq_u32_e64 s2, 3, v15
	v_cndmask_b32_e64 v8, 0, 1, vcc_lo
	v_cmp_lt_i32_e32 vcc_lo, 5, v14
	v_lshl_or_b32 v6, v6, 9, 0x7c00
	v_lshl_or_b32 v8, v8, 9, 0x7c00
	s_or_b32 vcc_lo, s0, vcc_lo
	v_add_co_ci_u32_e32 v12, vcc_lo, 0, v12, vcc_lo
	s_or_b32 vcc_lo, s2, s1
	v_add_co_ci_u32_e32 v10, vcc_lo, 0, v10, vcc_lo
	v_cmp_gt_i32_e32 vcc_lo, 31, v11
	v_cndmask_b32_e32 v12, 0x7c00, v12, vcc_lo
	v_cmp_gt_i32_e32 vcc_lo, 31, v13
	v_cndmask_b32_e32 v10, 0x7c00, v10, vcc_lo
	v_cmp_eq_u32_e32 vcc_lo, 0x40f, v11
	v_cndmask_b32_e32 v6, v12, v6, vcc_lo
	v_cmp_eq_u32_e32 vcc_lo, 0x40f, v13
	v_and_or_b32 v6, 0x8000, v7, v6
	v_cndmask_b32_e32 v8, v10, v8, vcc_lo
	v_add_co_u32 v4, vcc_lo, v4, s6
	v_add_co_ci_u32_e32 v5, vcc_lo, s3, v5, vcc_lo
	v_and_or_b32 v7, 0x8000, v9, v8
	v_and_b32_e32 v6, 0xffff, v6
	v_lshl_or_b32 v6, v7, 16, v6
	global_store_dword v[4:5], v6, off
	global_load_dword v8, v28, s[12:13] offset:792
	ds_read2_b32 v[6:7], v31 offset0:198 offset1:220
	s_waitcnt lgkmcnt(0)
	v_lshrrev_b32_e32 v9, 16, v6
	s_waitcnt vmcnt(0)
	v_mul_f16_sdwa v10, v9, v8 dst_sel:DWORD dst_unused:UNUSED_PAD src0_sel:DWORD src1_sel:WORD_1
	v_mul_f16_sdwa v11, v6, v8 dst_sel:DWORD dst_unused:UNUSED_PAD src0_sel:DWORD src1_sel:WORD_1
	v_fmac_f16_e32 v10, v6, v8
	v_fma_f16 v6, v8, v9, -v11
	v_cvt_f32_f16_e32 v8, v10
	v_cvt_f32_f16_e32 v6, v6
	v_cvt_f64_f32_e32 v[8:9], v8
	v_cvt_f64_f32_e32 v[10:11], v6
	v_mul_f64 v[8:9], v[8:9], s[8:9]
	v_mul_f64 v[10:11], v[10:11], s[8:9]
	v_and_or_b32 v6, 0x1ff, v9, v8
	v_and_or_b32 v10, 0x1ff, v11, v10
	v_lshrrev_b32_e32 v8, 8, v9
	v_bfe_u32 v12, v9, 20, 11
	v_lshrrev_b32_e32 v13, 8, v11
	v_cmp_ne_u32_e32 vcc_lo, 0, v6
	v_bfe_u32 v14, v11, 20, 11
	v_lshrrev_b32_e32 v9, 16, v9
	v_sub_nc_u32_e32 v15, 0x3f1, v12
	v_add_nc_u32_e32 v12, 0xfffffc10, v12
	v_cndmask_b32_e64 v6, 0, 1, vcc_lo
	v_cmp_ne_u32_e32 vcc_lo, 0, v10
	v_lshrrev_b32_e32 v11, 16, v11
	v_and_or_b32 v6, 0xffe, v8, v6
	v_cndmask_b32_e64 v10, 0, 1, vcc_lo
	v_sub_nc_u32_e32 v8, 0x3f1, v14
	v_add_nc_u32_e32 v14, 0xfffffc10, v14
	v_and_or_b32 v10, 0xffe, v13, v10
	v_med3_i32 v13, v15, 0, 13
	v_or_b32_e32 v15, 0x1000, v6
	v_med3_i32 v8, v8, 0, 13
	v_or_b32_e32 v16, 0x1000, v10
	v_lshrrev_b32_e32 v17, v13, v15
	v_lshrrev_b32_e32 v18, v8, v16
	v_lshlrev_b32_e32 v13, v13, v17
	v_lshlrev_b32_e32 v8, v8, v18
	v_cmp_ne_u32_e32 vcc_lo, v13, v15
	v_lshl_or_b32 v15, v12, 12, v6
	v_cndmask_b32_e64 v13, 0, 1, vcc_lo
	v_cmp_ne_u32_e32 vcc_lo, v8, v16
	v_lshl_or_b32 v16, v14, 12, v10
	v_or_b32_e32 v13, v17, v13
	v_cndmask_b32_e64 v8, 0, 1, vcc_lo
	v_cmp_gt_i32_e32 vcc_lo, 1, v12
	v_or_b32_e32 v8, v18, v8
	v_cndmask_b32_e32 v13, v15, v13, vcc_lo
	v_cmp_gt_i32_e32 vcc_lo, 1, v14
	v_and_b32_e32 v15, 7, v13
	v_cndmask_b32_e32 v8, v16, v8, vcc_lo
	v_cmp_ne_u32_e32 vcc_lo, 0, v6
	v_lshrrev_b32_e32 v13, 2, v13
	v_cmp_eq_u32_e64 s0, 3, v15
	v_and_b32_e32 v16, 7, v8
	v_cndmask_b32_e64 v6, 0, 1, vcc_lo
	v_cmp_ne_u32_e32 vcc_lo, 0, v10
	v_lshrrev_b32_e32 v8, 2, v8
	v_cmp_lt_i32_e64 s1, 5, v16
	v_cmp_eq_u32_e64 s2, 3, v16
	v_cndmask_b32_e64 v10, 0, 1, vcc_lo
	v_cmp_lt_i32_e32 vcc_lo, 5, v15
	v_lshl_or_b32 v6, v6, 9, 0x7c00
	v_lshl_or_b32 v10, v10, 9, 0x7c00
	s_or_b32 vcc_lo, s0, vcc_lo
	v_add_co_ci_u32_e32 v13, vcc_lo, 0, v13, vcc_lo
	s_or_b32 vcc_lo, s2, s1
	v_add_co_ci_u32_e32 v8, vcc_lo, 0, v8, vcc_lo
	v_cmp_gt_i32_e32 vcc_lo, 31, v12
	v_cndmask_b32_e32 v13, 0x7c00, v13, vcc_lo
	v_cmp_gt_i32_e32 vcc_lo, 31, v14
	v_cndmask_b32_e32 v8, 0x7c00, v8, vcc_lo
	v_cmp_eq_u32_e32 vcc_lo, 0x40f, v12
	v_cndmask_b32_e32 v6, v13, v6, vcc_lo
	v_cmp_eq_u32_e32 vcc_lo, 0x40f, v14
	v_and_or_b32 v6, 0x8000, v9, v6
	v_cndmask_b32_e32 v8, v8, v10, vcc_lo
	v_add_co_u32 v4, vcc_lo, v4, s6
	v_add_co_ci_u32_e32 v5, vcc_lo, s3, v5, vcc_lo
	v_and_or_b32 v8, 0x8000, v11, v8
	v_and_b32_e32 v6, 0xffff, v6
	v_lshl_or_b32 v6, v8, 16, v6
	v_lshrrev_b32_e32 v8, 16, v7
	global_store_dword v[4:5], v6, off
	global_load_dword v6, v28, s[12:13] offset:880
	s_waitcnt vmcnt(0)
	v_mul_f16_sdwa v9, v8, v6 dst_sel:DWORD dst_unused:UNUSED_PAD src0_sel:DWORD src1_sel:WORD_1
	v_mul_f16_sdwa v10, v7, v6 dst_sel:DWORD dst_unused:UNUSED_PAD src0_sel:DWORD src1_sel:WORD_1
	v_fmac_f16_e32 v9, v7, v6
	v_fma_f16 v6, v6, v8, -v10
	v_cvt_f32_f16_e32 v7, v9
	v_cvt_f32_f16_e32 v8, v6
	v_cvt_f64_f32_e32 v[6:7], v7
	v_cvt_f64_f32_e32 v[8:9], v8
	v_mul_f64 v[6:7], v[6:7], s[8:9]
	v_mul_f64 v[8:9], v[8:9], s[8:9]
	v_and_or_b32 v6, 0x1ff, v7, v6
	v_and_or_b32 v8, 0x1ff, v9, v8
	v_lshrrev_b32_e32 v10, 8, v7
	v_bfe_u32 v11, v7, 20, 11
	v_lshrrev_b32_e32 v12, 8, v9
	v_cmp_ne_u32_e32 vcc_lo, 0, v6
	v_bfe_u32 v13, v9, 20, 11
	v_lshrrev_b32_e32 v7, 16, v7
	v_sub_nc_u32_e32 v14, 0x3f1, v11
	v_add_nc_u32_e32 v11, 0xfffffc10, v11
	v_cndmask_b32_e64 v6, 0, 1, vcc_lo
	v_cmp_ne_u32_e32 vcc_lo, 0, v8
	v_lshrrev_b32_e32 v9, 16, v9
	v_and_or_b32 v6, 0xffe, v10, v6
	v_cndmask_b32_e64 v8, 0, 1, vcc_lo
	v_sub_nc_u32_e32 v10, 0x3f1, v13
	v_add_nc_u32_e32 v13, 0xfffffc10, v13
	v_and_or_b32 v8, 0xffe, v12, v8
	v_med3_i32 v12, v14, 0, 13
	v_or_b32_e32 v14, 0x1000, v6
	v_med3_i32 v10, v10, 0, 13
	v_or_b32_e32 v15, 0x1000, v8
	v_lshrrev_b32_e32 v16, v12, v14
	v_lshrrev_b32_e32 v17, v10, v15
	v_lshlrev_b32_e32 v12, v12, v16
	v_lshlrev_b32_e32 v10, v10, v17
	v_cmp_ne_u32_e32 vcc_lo, v12, v14
	v_lshl_or_b32 v14, v11, 12, v6
	v_cndmask_b32_e64 v12, 0, 1, vcc_lo
	v_cmp_ne_u32_e32 vcc_lo, v10, v15
	v_lshl_or_b32 v15, v13, 12, v8
	v_or_b32_e32 v12, v16, v12
	v_cndmask_b32_e64 v10, 0, 1, vcc_lo
	v_cmp_gt_i32_e32 vcc_lo, 1, v11
	v_or_b32_e32 v10, v17, v10
	v_cndmask_b32_e32 v12, v14, v12, vcc_lo
	v_cmp_gt_i32_e32 vcc_lo, 1, v13
	v_and_b32_e32 v14, 7, v12
	v_cndmask_b32_e32 v10, v15, v10, vcc_lo
	v_cmp_ne_u32_e32 vcc_lo, 0, v6
	v_lshrrev_b32_e32 v12, 2, v12
	v_cmp_eq_u32_e64 s0, 3, v14
	v_and_b32_e32 v15, 7, v10
	v_cndmask_b32_e64 v6, 0, 1, vcc_lo
	v_cmp_ne_u32_e32 vcc_lo, 0, v8
	v_lshrrev_b32_e32 v10, 2, v10
	v_cmp_lt_i32_e64 s1, 5, v15
	v_cmp_eq_u32_e64 s2, 3, v15
	v_cndmask_b32_e64 v8, 0, 1, vcc_lo
	v_cmp_lt_i32_e32 vcc_lo, 5, v14
	v_lshl_or_b32 v6, v6, 9, 0x7c00
	v_lshl_or_b32 v8, v8, 9, 0x7c00
	s_or_b32 vcc_lo, s0, vcc_lo
	v_add_co_ci_u32_e32 v12, vcc_lo, 0, v12, vcc_lo
	s_or_b32 vcc_lo, s2, s1
	v_add_co_ci_u32_e32 v10, vcc_lo, 0, v10, vcc_lo
	v_cmp_gt_i32_e32 vcc_lo, 31, v11
	v_cndmask_b32_e32 v12, 0x7c00, v12, vcc_lo
	v_cmp_gt_i32_e32 vcc_lo, 31, v13
	v_cndmask_b32_e32 v10, 0x7c00, v10, vcc_lo
	v_cmp_eq_u32_e32 vcc_lo, 0x40f, v11
	v_cndmask_b32_e32 v6, v12, v6, vcc_lo
	v_cmp_eq_u32_e32 vcc_lo, 0x40f, v13
	v_and_or_b32 v6, 0x8000, v7, v6
	v_cndmask_b32_e32 v8, v10, v8, vcc_lo
	v_add_co_u32 v4, vcc_lo, v4, s6
	v_add_co_ci_u32_e32 v5, vcc_lo, s3, v5, vcc_lo
	v_and_or_b32 v7, 0x8000, v9, v8
	v_and_b32_e32 v6, 0xffff, v6
	v_lshl_or_b32 v6, v7, 16, v6
	global_store_dword v[4:5], v6, off
	global_load_dword v8, v28, s[12:13] offset:968
	ds_read2_b32 v[6:7], v3 offset0:114 offset1:136
	s_waitcnt lgkmcnt(0)
	v_lshrrev_b32_e32 v3, 16, v6
	s_waitcnt vmcnt(0)
	v_mul_f16_sdwa v9, v3, v8 dst_sel:DWORD dst_unused:UNUSED_PAD src0_sel:DWORD src1_sel:WORD_1
	v_mul_f16_sdwa v10, v6, v8 dst_sel:DWORD dst_unused:UNUSED_PAD src0_sel:DWORD src1_sel:WORD_1
	v_fmac_f16_e32 v9, v6, v8
	v_fma_f16 v3, v8, v3, -v10
	v_cvt_f32_f16_e32 v6, v9
	v_cvt_f32_f16_e32 v3, v3
	v_cvt_f64_f32_e32 v[8:9], v6
	v_cvt_f64_f32_e32 v[10:11], v3
	v_mul_f64 v[8:9], v[8:9], s[8:9]
	v_mul_f64 v[10:11], v[10:11], s[8:9]
	v_and_or_b32 v3, 0x1ff, v9, v8
	v_and_or_b32 v10, 0x1ff, v11, v10
	v_lshrrev_b32_e32 v6, 8, v9
	v_bfe_u32 v8, v9, 20, 11
	v_lshrrev_b32_e32 v12, 8, v11
	v_cmp_ne_u32_e32 vcc_lo, 0, v3
	v_bfe_u32 v13, v11, 20, 11
	v_lshrrev_b32_e32 v9, 16, v9
	v_sub_nc_u32_e32 v14, 0x3f1, v8
	v_add_nc_u32_e32 v8, 0xfffffc10, v8
	v_cndmask_b32_e64 v3, 0, 1, vcc_lo
	v_cmp_ne_u32_e32 vcc_lo, 0, v10
	v_and_or_b32 v3, 0xffe, v6, v3
	v_cndmask_b32_e64 v10, 0, 1, vcc_lo
	v_sub_nc_u32_e32 v6, 0x3f1, v13
	v_add_nc_u32_e32 v13, 0xfffffc10, v13
	v_and_or_b32 v10, 0xffe, v12, v10
	v_med3_i32 v12, v14, 0, 13
	v_or_b32_e32 v14, 0x1000, v3
	v_med3_i32 v6, v6, 0, 13
	v_or_b32_e32 v15, 0x1000, v10
	v_lshrrev_b32_e32 v16, v12, v14
	v_lshrrev_b32_e32 v17, v6, v15
	v_lshlrev_b32_e32 v12, v12, v16
	v_lshlrev_b32_e32 v6, v6, v17
	v_cmp_ne_u32_e32 vcc_lo, v12, v14
	v_lshl_or_b32 v14, v8, 12, v3
	v_cndmask_b32_e64 v12, 0, 1, vcc_lo
	v_cmp_ne_u32_e32 vcc_lo, v6, v15
	v_lshl_or_b32 v15, v13, 12, v10
	v_or_b32_e32 v12, v16, v12
	v_cndmask_b32_e64 v6, 0, 1, vcc_lo
	v_cmp_gt_i32_e32 vcc_lo, 1, v8
	v_or_b32_e32 v6, v17, v6
	v_cndmask_b32_e32 v12, v14, v12, vcc_lo
	v_cmp_gt_i32_e32 vcc_lo, 1, v13
	v_and_b32_e32 v14, 7, v12
	v_cndmask_b32_e32 v6, v15, v6, vcc_lo
	v_cmp_ne_u32_e32 vcc_lo, 0, v3
	v_lshrrev_b32_e32 v12, 2, v12
	v_cmp_eq_u32_e64 s0, 3, v14
	v_and_b32_e32 v15, 7, v6
	v_cndmask_b32_e64 v3, 0, 1, vcc_lo
	v_cmp_ne_u32_e32 vcc_lo, 0, v10
	v_lshrrev_b32_e32 v6, 2, v6
	v_cmp_lt_i32_e64 s1, 5, v15
	v_cmp_eq_u32_e64 s2, 3, v15
	v_cndmask_b32_e64 v10, 0, 1, vcc_lo
	v_cmp_lt_i32_e32 vcc_lo, 5, v14
	v_lshl_or_b32 v3, v3, 9, 0x7c00
	v_lshl_or_b32 v10, v10, 9, 0x7c00
	s_or_b32 vcc_lo, s0, vcc_lo
	v_add_co_ci_u32_e32 v12, vcc_lo, 0, v12, vcc_lo
	s_or_b32 vcc_lo, s2, s1
	v_add_co_ci_u32_e32 v6, vcc_lo, 0, v6, vcc_lo
	v_cmp_gt_i32_e32 vcc_lo, 31, v8
	v_cndmask_b32_e32 v12, 0x7c00, v12, vcc_lo
	v_cmp_gt_i32_e32 vcc_lo, 31, v13
	v_cndmask_b32_e32 v6, 0x7c00, v6, vcc_lo
	v_cmp_eq_u32_e32 vcc_lo, 0x40f, v8
	v_lshrrev_b32_e32 v8, 16, v11
	v_cndmask_b32_e32 v3, v12, v3, vcc_lo
	v_cmp_eq_u32_e32 vcc_lo, 0x40f, v13
	v_and_or_b32 v3, 0x8000, v9, v3
	v_cndmask_b32_e32 v6, v6, v10, vcc_lo
	v_and_or_b32 v6, 0x8000, v8, v6
	v_and_b32_e32 v8, 0xffff, v3
	v_add_co_u32 v3, vcc_lo, v4, s6
	v_add_co_ci_u32_e32 v4, vcc_lo, s3, v5, vcc_lo
	v_lshl_or_b32 v5, v6, 16, v8
	v_lshrrev_b32_e32 v6, 16, v7
	global_store_dword v[3:4], v5, off
	global_load_dword v5, v28, s[12:13] offset:1056
	s_waitcnt vmcnt(0)
	v_mul_f16_sdwa v8, v6, v5 dst_sel:DWORD dst_unused:UNUSED_PAD src0_sel:DWORD src1_sel:WORD_1
	v_mul_f16_sdwa v9, v7, v5 dst_sel:DWORD dst_unused:UNUSED_PAD src0_sel:DWORD src1_sel:WORD_1
	v_fmac_f16_e32 v8, v7, v5
	v_fma_f16 v5, v5, v6, -v9
	v_cvt_f32_f16_e32 v6, v8
	v_cvt_f32_f16_e32 v7, v5
	v_cvt_f64_f32_e32 v[5:6], v6
	v_cvt_f64_f32_e32 v[7:8], v7
	v_mul_f64 v[5:6], v[5:6], s[8:9]
	v_mul_f64 v[7:8], v[7:8], s[8:9]
	v_and_or_b32 v5, 0x1ff, v6, v5
	v_and_or_b32 v7, 0x1ff, v8, v7
	v_lshrrev_b32_e32 v9, 8, v6
	v_bfe_u32 v10, v6, 20, 11
	v_lshrrev_b32_e32 v11, 8, v8
	v_cmp_ne_u32_e32 vcc_lo, 0, v5
	v_bfe_u32 v12, v8, 20, 11
	v_lshrrev_b32_e32 v6, 16, v6
	v_sub_nc_u32_e32 v13, 0x3f1, v10
	v_add_nc_u32_e32 v10, 0xfffffc10, v10
	v_cndmask_b32_e64 v5, 0, 1, vcc_lo
	v_cmp_ne_u32_e32 vcc_lo, 0, v7
	v_lshrrev_b32_e32 v8, 16, v8
	v_and_or_b32 v5, 0xffe, v9, v5
	v_cndmask_b32_e64 v7, 0, 1, vcc_lo
	v_sub_nc_u32_e32 v9, 0x3f1, v12
	v_add_nc_u32_e32 v12, 0xfffffc10, v12
	v_and_or_b32 v7, 0xffe, v11, v7
	v_med3_i32 v11, v13, 0, 13
	v_or_b32_e32 v13, 0x1000, v5
	v_med3_i32 v9, v9, 0, 13
	v_or_b32_e32 v14, 0x1000, v7
	v_lshrrev_b32_e32 v15, v11, v13
	v_lshrrev_b32_e32 v16, v9, v14
	v_lshlrev_b32_e32 v11, v11, v15
	v_lshlrev_b32_e32 v9, v9, v16
	v_cmp_ne_u32_e32 vcc_lo, v11, v13
	v_lshl_or_b32 v13, v10, 12, v5
	v_cndmask_b32_e64 v11, 0, 1, vcc_lo
	v_cmp_ne_u32_e32 vcc_lo, v9, v14
	v_lshl_or_b32 v14, v12, 12, v7
	v_or_b32_e32 v11, v15, v11
	v_cndmask_b32_e64 v9, 0, 1, vcc_lo
	v_cmp_gt_i32_e32 vcc_lo, 1, v10
	v_or_b32_e32 v9, v16, v9
	v_cndmask_b32_e32 v11, v13, v11, vcc_lo
	v_cmp_gt_i32_e32 vcc_lo, 1, v12
	v_and_b32_e32 v13, 7, v11
	v_cndmask_b32_e32 v9, v14, v9, vcc_lo
	v_cmp_ne_u32_e32 vcc_lo, 0, v5
	v_lshrrev_b32_e32 v11, 2, v11
	v_cmp_eq_u32_e64 s0, 3, v13
	v_and_b32_e32 v14, 7, v9
	v_cndmask_b32_e64 v5, 0, 1, vcc_lo
	v_cmp_ne_u32_e32 vcc_lo, 0, v7
	v_lshrrev_b32_e32 v9, 2, v9
	v_cmp_lt_i32_e64 s1, 5, v14
	v_cmp_eq_u32_e64 s2, 3, v14
	v_cndmask_b32_e64 v7, 0, 1, vcc_lo
	v_cmp_lt_i32_e32 vcc_lo, 5, v13
	v_lshl_or_b32 v5, v5, 9, 0x7c00
	v_lshl_or_b32 v7, v7, 9, 0x7c00
	s_or_b32 vcc_lo, s0, vcc_lo
	v_add_co_ci_u32_e32 v11, vcc_lo, 0, v11, vcc_lo
	s_or_b32 vcc_lo, s2, s1
	v_add_co_ci_u32_e32 v9, vcc_lo, 0, v9, vcc_lo
	v_cmp_gt_i32_e32 vcc_lo, 31, v10
	v_cndmask_b32_e32 v11, 0x7c00, v11, vcc_lo
	v_cmp_gt_i32_e32 vcc_lo, 31, v12
	v_cndmask_b32_e32 v9, 0x7c00, v9, vcc_lo
	v_cmp_eq_u32_e32 vcc_lo, 0x40f, v10
	v_cndmask_b32_e32 v5, v11, v5, vcc_lo
	v_cmp_eq_u32_e32 vcc_lo, 0x40f, v12
	v_and_or_b32 v5, 0x8000, v6, v5
	v_cndmask_b32_e32 v7, v9, v7, vcc_lo
	v_add_co_u32 v3, vcc_lo, v3, s6
	v_add_co_ci_u32_e32 v4, vcc_lo, s3, v4, vcc_lo
	v_and_or_b32 v6, 0x8000, v8, v7
	v_and_b32_e32 v5, 0xffff, v5
	v_lshl_or_b32 v5, v6, 16, v5
	global_store_dword v[3:4], v5, off
	global_load_dword v7, v28, s[12:13] offset:1144
	ds_read2_b32 v[5:6], v2 offset0:30 offset1:52
	s_waitcnt lgkmcnt(0)
	v_lshrrev_b32_e32 v8, 16, v5
	s_waitcnt vmcnt(0)
	v_mul_f16_sdwa v9, v8, v7 dst_sel:DWORD dst_unused:UNUSED_PAD src0_sel:DWORD src1_sel:WORD_1
	v_mul_f16_sdwa v10, v5, v7 dst_sel:DWORD dst_unused:UNUSED_PAD src0_sel:DWORD src1_sel:WORD_1
	v_fmac_f16_e32 v9, v5, v7
	v_fma_f16 v5, v7, v8, -v10
	v_cvt_f32_f16_e32 v7, v9
	v_cvt_f32_f16_e32 v5, v5
	v_cvt_f64_f32_e32 v[7:8], v7
	v_cvt_f64_f32_e32 v[9:10], v5
	v_mul_f64 v[7:8], v[7:8], s[8:9]
	v_mul_f64 v[9:10], v[9:10], s[8:9]
	v_and_or_b32 v5, 0x1ff, v8, v7
	v_and_or_b32 v9, 0x1ff, v10, v9
	v_lshrrev_b32_e32 v7, 8, v8
	v_bfe_u32 v11, v8, 20, 11
	v_lshrrev_b32_e32 v12, 8, v10
	v_cmp_ne_u32_e32 vcc_lo, 0, v5
	v_bfe_u32 v13, v10, 20, 11
	v_lshrrev_b32_e32 v8, 16, v8
	v_sub_nc_u32_e32 v14, 0x3f1, v11
	v_add_nc_u32_e32 v11, 0xfffffc10, v11
	v_cndmask_b32_e64 v5, 0, 1, vcc_lo
	v_cmp_ne_u32_e32 vcc_lo, 0, v9
	v_lshrrev_b32_e32 v10, 16, v10
	v_and_or_b32 v5, 0xffe, v7, v5
	v_cndmask_b32_e64 v9, 0, 1, vcc_lo
	v_sub_nc_u32_e32 v7, 0x3f1, v13
	v_add_nc_u32_e32 v13, 0xfffffc10, v13
	v_and_or_b32 v9, 0xffe, v12, v9
	v_med3_i32 v12, v14, 0, 13
	v_or_b32_e32 v14, 0x1000, v5
	v_med3_i32 v7, v7, 0, 13
	v_or_b32_e32 v15, 0x1000, v9
	v_lshrrev_b32_e32 v16, v12, v14
	v_lshrrev_b32_e32 v17, v7, v15
	v_lshlrev_b32_e32 v12, v12, v16
	v_lshlrev_b32_e32 v7, v7, v17
	v_cmp_ne_u32_e32 vcc_lo, v12, v14
	v_lshl_or_b32 v14, v11, 12, v5
	v_cndmask_b32_e64 v12, 0, 1, vcc_lo
	v_cmp_ne_u32_e32 vcc_lo, v7, v15
	v_lshl_or_b32 v15, v13, 12, v9
	v_or_b32_e32 v12, v16, v12
	v_cndmask_b32_e64 v7, 0, 1, vcc_lo
	v_cmp_gt_i32_e32 vcc_lo, 1, v11
	v_or_b32_e32 v7, v17, v7
	v_cndmask_b32_e32 v12, v14, v12, vcc_lo
	v_cmp_gt_i32_e32 vcc_lo, 1, v13
	v_and_b32_e32 v14, 7, v12
	v_cndmask_b32_e32 v7, v15, v7, vcc_lo
	v_cmp_ne_u32_e32 vcc_lo, 0, v5
	v_lshrrev_b32_e32 v12, 2, v12
	v_cmp_eq_u32_e64 s0, 3, v14
	v_and_b32_e32 v15, 7, v7
	v_cndmask_b32_e64 v5, 0, 1, vcc_lo
	v_cmp_ne_u32_e32 vcc_lo, 0, v9
	v_lshrrev_b32_e32 v7, 2, v7
	v_cmp_lt_i32_e64 s1, 5, v15
	v_cmp_eq_u32_e64 s2, 3, v15
	v_cndmask_b32_e64 v9, 0, 1, vcc_lo
	v_cmp_lt_i32_e32 vcc_lo, 5, v14
	v_lshl_or_b32 v5, v5, 9, 0x7c00
	v_lshl_or_b32 v9, v9, 9, 0x7c00
	s_or_b32 vcc_lo, s0, vcc_lo
	v_add_co_ci_u32_e32 v12, vcc_lo, 0, v12, vcc_lo
	s_or_b32 vcc_lo, s2, s1
	v_add_co_ci_u32_e32 v7, vcc_lo, 0, v7, vcc_lo
	v_cmp_gt_i32_e32 vcc_lo, 31, v11
	v_cndmask_b32_e32 v12, 0x7c00, v12, vcc_lo
	v_cmp_gt_i32_e32 vcc_lo, 31, v13
	v_cndmask_b32_e32 v7, 0x7c00, v7, vcc_lo
	v_cmp_eq_u32_e32 vcc_lo, 0x40f, v11
	v_cndmask_b32_e32 v5, v12, v5, vcc_lo
	v_cmp_eq_u32_e32 vcc_lo, 0x40f, v13
	v_and_or_b32 v5, 0x8000, v8, v5
	v_cndmask_b32_e32 v7, v7, v9, vcc_lo
	v_add_co_u32 v3, vcc_lo, v3, s6
	v_add_co_ci_u32_e32 v4, vcc_lo, s3, v4, vcc_lo
	v_and_or_b32 v7, 0x8000, v10, v7
	v_and_b32_e32 v5, 0xffff, v5
	v_lshl_or_b32 v5, v7, 16, v5
	v_lshrrev_b32_e32 v7, 16, v6
	global_store_dword v[3:4], v5, off
	global_load_dword v5, v28, s[12:13] offset:1232
	s_waitcnt vmcnt(0)
	v_mul_f16_sdwa v8, v7, v5 dst_sel:DWORD dst_unused:UNUSED_PAD src0_sel:DWORD src1_sel:WORD_1
	v_mul_f16_sdwa v9, v6, v5 dst_sel:DWORD dst_unused:UNUSED_PAD src0_sel:DWORD src1_sel:WORD_1
	v_fmac_f16_e32 v8, v6, v5
	v_fma_f16 v5, v5, v7, -v9
	v_cvt_f32_f16_e32 v6, v8
	v_cvt_f32_f16_e32 v7, v5
	v_cvt_f64_f32_e32 v[5:6], v6
	v_cvt_f64_f32_e32 v[7:8], v7
	v_mul_f64 v[5:6], v[5:6], s[8:9]
	v_mul_f64 v[7:8], v[7:8], s[8:9]
	v_and_or_b32 v5, 0x1ff, v6, v5
	v_and_or_b32 v7, 0x1ff, v8, v7
	v_lshrrev_b32_e32 v9, 8, v6
	v_bfe_u32 v10, v6, 20, 11
	v_lshrrev_b32_e32 v11, 8, v8
	v_cmp_ne_u32_e32 vcc_lo, 0, v5
	v_bfe_u32 v12, v8, 20, 11
	v_lshrrev_b32_e32 v6, 16, v6
	v_sub_nc_u32_e32 v13, 0x3f1, v10
	v_add_nc_u32_e32 v10, 0xfffffc10, v10
	v_cndmask_b32_e64 v5, 0, 1, vcc_lo
	v_cmp_ne_u32_e32 vcc_lo, 0, v7
	v_lshrrev_b32_e32 v8, 16, v8
	v_and_or_b32 v5, 0xffe, v9, v5
	v_cndmask_b32_e64 v7, 0, 1, vcc_lo
	v_sub_nc_u32_e32 v9, 0x3f1, v12
	v_add_nc_u32_e32 v12, 0xfffffc10, v12
	v_and_or_b32 v7, 0xffe, v11, v7
	v_med3_i32 v11, v13, 0, 13
	v_or_b32_e32 v13, 0x1000, v5
	v_med3_i32 v9, v9, 0, 13
	v_or_b32_e32 v14, 0x1000, v7
	v_lshrrev_b32_e32 v15, v11, v13
	v_lshrrev_b32_e32 v16, v9, v14
	v_lshlrev_b32_e32 v11, v11, v15
	v_lshlrev_b32_e32 v9, v9, v16
	v_cmp_ne_u32_e32 vcc_lo, v11, v13
	v_lshl_or_b32 v13, v10, 12, v5
	v_cndmask_b32_e64 v11, 0, 1, vcc_lo
	v_cmp_ne_u32_e32 vcc_lo, v9, v14
	v_lshl_or_b32 v14, v12, 12, v7
	v_or_b32_e32 v11, v15, v11
	v_cndmask_b32_e64 v9, 0, 1, vcc_lo
	v_cmp_gt_i32_e32 vcc_lo, 1, v10
	v_or_b32_e32 v9, v16, v9
	v_cndmask_b32_e32 v11, v13, v11, vcc_lo
	v_cmp_gt_i32_e32 vcc_lo, 1, v12
	v_and_b32_e32 v13, 7, v11
	v_cndmask_b32_e32 v9, v14, v9, vcc_lo
	v_cmp_ne_u32_e32 vcc_lo, 0, v5
	v_lshrrev_b32_e32 v11, 2, v11
	v_cmp_eq_u32_e64 s0, 3, v13
	v_and_b32_e32 v14, 7, v9
	v_cndmask_b32_e64 v5, 0, 1, vcc_lo
	v_cmp_ne_u32_e32 vcc_lo, 0, v7
	v_lshrrev_b32_e32 v9, 2, v9
	v_cmp_lt_i32_e64 s1, 5, v14
	v_cmp_eq_u32_e64 s2, 3, v14
	v_cndmask_b32_e64 v7, 0, 1, vcc_lo
	v_cmp_lt_i32_e32 vcc_lo, 5, v13
	v_lshl_or_b32 v5, v5, 9, 0x7c00
	v_lshl_or_b32 v7, v7, 9, 0x7c00
	s_or_b32 vcc_lo, s0, vcc_lo
	v_add_co_ci_u32_e32 v11, vcc_lo, 0, v11, vcc_lo
	s_or_b32 vcc_lo, s2, s1
	v_add_co_ci_u32_e32 v9, vcc_lo, 0, v9, vcc_lo
	v_cmp_gt_i32_e32 vcc_lo, 31, v10
	v_cndmask_b32_e32 v11, 0x7c00, v11, vcc_lo
	v_cmp_gt_i32_e32 vcc_lo, 31, v12
	v_cndmask_b32_e32 v9, 0x7c00, v9, vcc_lo
	v_cmp_eq_u32_e32 vcc_lo, 0x40f, v10
	v_cndmask_b32_e32 v5, v11, v5, vcc_lo
	v_cmp_eq_u32_e32 vcc_lo, 0x40f, v12
	v_and_or_b32 v5, 0x8000, v6, v5
	v_cndmask_b32_e32 v7, v9, v7, vcc_lo
	v_add_co_u32 v3, vcc_lo, v3, s6
	v_add_co_ci_u32_e32 v4, vcc_lo, s3, v4, vcc_lo
	v_and_or_b32 v6, 0x8000, v8, v7
	v_and_b32_e32 v5, 0xffff, v5
	v_lshl_or_b32 v5, v6, 16, v5
	global_store_dword v[3:4], v5, off
	global_load_dword v7, v28, s[12:13] offset:1320
	ds_read2_b32 v[5:6], v2 offset0:74 offset1:96
	s_waitcnt lgkmcnt(0)
	v_lshrrev_b32_e32 v2, 16, v5
	s_waitcnt vmcnt(0)
	v_mul_f16_sdwa v8, v2, v7 dst_sel:DWORD dst_unused:UNUSED_PAD src0_sel:DWORD src1_sel:WORD_1
	v_mul_f16_sdwa v9, v5, v7 dst_sel:DWORD dst_unused:UNUSED_PAD src0_sel:DWORD src1_sel:WORD_1
	v_fmac_f16_e32 v8, v5, v7
	v_fma_f16 v2, v7, v2, -v9
	v_cvt_f32_f16_e32 v5, v8
	v_cvt_f32_f16_e32 v2, v2
	v_cvt_f64_f32_e32 v[7:8], v5
	v_cvt_f64_f32_e32 v[9:10], v2
	v_mul_f64 v[7:8], v[7:8], s[8:9]
	v_mul_f64 v[9:10], v[9:10], s[8:9]
	v_and_or_b32 v2, 0x1ff, v8, v7
	v_and_or_b32 v9, 0x1ff, v10, v9
	v_lshrrev_b32_e32 v5, 8, v8
	v_bfe_u32 v7, v8, 20, 11
	v_lshrrev_b32_e32 v11, 8, v10
	v_cmp_ne_u32_e32 vcc_lo, 0, v2
	v_bfe_u32 v12, v10, 20, 11
	v_lshrrev_b32_e32 v8, 16, v8
	v_sub_nc_u32_e32 v13, 0x3f1, v7
	v_add_nc_u32_e32 v7, 0xfffffc10, v7
	v_cndmask_b32_e64 v2, 0, 1, vcc_lo
	v_cmp_ne_u32_e32 vcc_lo, 0, v9
	v_and_or_b32 v2, 0xffe, v5, v2
	v_cndmask_b32_e64 v9, 0, 1, vcc_lo
	v_sub_nc_u32_e32 v5, 0x3f1, v12
	v_add_nc_u32_e32 v12, 0xfffffc10, v12
	v_and_or_b32 v9, 0xffe, v11, v9
	v_med3_i32 v11, v13, 0, 13
	v_or_b32_e32 v13, 0x1000, v2
	v_med3_i32 v5, v5, 0, 13
	v_or_b32_e32 v14, 0x1000, v9
	v_lshrrev_b32_e32 v15, v11, v13
	v_lshrrev_b32_e32 v16, v5, v14
	v_lshlrev_b32_e32 v11, v11, v15
	v_lshlrev_b32_e32 v5, v5, v16
	v_cmp_ne_u32_e32 vcc_lo, v11, v13
	v_lshl_or_b32 v13, v7, 12, v2
	v_cndmask_b32_e64 v11, 0, 1, vcc_lo
	v_cmp_ne_u32_e32 vcc_lo, v5, v14
	v_lshl_or_b32 v14, v12, 12, v9
	v_or_b32_e32 v11, v15, v11
	v_cndmask_b32_e64 v5, 0, 1, vcc_lo
	v_cmp_gt_i32_e32 vcc_lo, 1, v7
	v_or_b32_e32 v5, v16, v5
	v_cndmask_b32_e32 v11, v13, v11, vcc_lo
	v_cmp_gt_i32_e32 vcc_lo, 1, v12
	v_and_b32_e32 v13, 7, v11
	v_cndmask_b32_e32 v5, v14, v5, vcc_lo
	v_cmp_ne_u32_e32 vcc_lo, 0, v2
	v_lshrrev_b32_e32 v11, 2, v11
	v_cmp_eq_u32_e64 s0, 3, v13
	v_and_b32_e32 v14, 7, v5
	v_cndmask_b32_e64 v2, 0, 1, vcc_lo
	v_cmp_ne_u32_e32 vcc_lo, 0, v9
	v_lshrrev_b32_e32 v5, 2, v5
	v_cmp_lt_i32_e64 s1, 5, v14
	v_cmp_eq_u32_e64 s2, 3, v14
	v_cndmask_b32_e64 v9, 0, 1, vcc_lo
	v_cmp_lt_i32_e32 vcc_lo, 5, v13
	v_lshl_or_b32 v2, v2, 9, 0x7c00
	v_lshl_or_b32 v9, v9, 9, 0x7c00
	s_or_b32 vcc_lo, s0, vcc_lo
	v_add_co_ci_u32_e32 v11, vcc_lo, 0, v11, vcc_lo
	s_or_b32 vcc_lo, s2, s1
	v_add_co_ci_u32_e32 v5, vcc_lo, 0, v5, vcc_lo
	v_cmp_gt_i32_e32 vcc_lo, 31, v7
	v_cndmask_b32_e32 v11, 0x7c00, v11, vcc_lo
	v_cmp_gt_i32_e32 vcc_lo, 31, v12
	v_cndmask_b32_e32 v5, 0x7c00, v5, vcc_lo
	v_cmp_eq_u32_e32 vcc_lo, 0x40f, v7
	v_lshrrev_b32_e32 v7, 16, v10
	v_cndmask_b32_e32 v2, v11, v2, vcc_lo
	v_cmp_eq_u32_e32 vcc_lo, 0x40f, v12
	v_and_or_b32 v2, 0x8000, v8, v2
	v_cndmask_b32_e32 v5, v5, v9, vcc_lo
	v_and_or_b32 v5, 0x8000, v7, v5
	v_and_b32_e32 v7, 0xffff, v2
	v_add_co_u32 v2, vcc_lo, v3, s6
	v_add_co_ci_u32_e32 v3, vcc_lo, s3, v4, vcc_lo
	v_lshl_or_b32 v4, v5, 16, v7
	global_store_dword v[2:3], v4, off
	global_load_dword v2, v28, s[12:13] offset:1408
	v_lshrrev_b32_e32 v3, 16, v6
	s_waitcnt vmcnt(0)
	v_mul_f16_sdwa v4, v3, v2 dst_sel:DWORD dst_unused:UNUSED_PAD src0_sel:DWORD src1_sel:WORD_1
	v_mul_f16_sdwa v5, v6, v2 dst_sel:DWORD dst_unused:UNUSED_PAD src0_sel:DWORD src1_sel:WORD_1
	v_fmac_f16_e32 v4, v6, v2
	v_fma_f16 v2, v2, v3, -v5
	v_cvt_f32_f16_e32 v3, v4
	v_cvt_f32_f16_e32 v4, v2
	v_cvt_f64_f32_e32 v[2:3], v3
	v_cvt_f64_f32_e32 v[4:5], v4
	v_mul_f64 v[2:3], v[2:3], s[8:9]
	v_mul_f64 v[4:5], v[4:5], s[8:9]
	v_and_or_b32 v2, 0x1ff, v3, v2
	v_and_or_b32 v4, 0x1ff, v5, v4
	v_lshrrev_b32_e32 v6, 8, v3
	v_bfe_u32 v8, v3, 20, 11
	v_bfe_u32 v9, v5, 20, 11
	v_cmp_ne_u32_e32 vcc_lo, 0, v2
	v_lshrrev_b32_e32 v7, 8, v5
	v_lshrrev_b32_e32 v5, 16, v5
	v_sub_nc_u32_e32 v10, 0x3f1, v8
	v_sub_nc_u32_e32 v11, 0x3f1, v9
	v_cndmask_b32_e64 v2, 0, 1, vcc_lo
	v_cmp_ne_u32_e32 vcc_lo, 0, v4
	v_add_nc_u32_e32 v9, 0xfffffc10, v9
	v_and_or_b32 v12, 0xffe, v6, v2
	v_cndmask_b32_e64 v4, 0, 1, vcc_lo
	v_med3_i32 v2, v10, 0, 13
	v_med3_i32 v10, v11, 0, 13
	v_or_b32_e32 v11, 0x1000, v12
	v_and_or_b32 v4, 0xffe, v7, v4
	v_mad_u64_u32 v[6:7], null, s4, v27, 0
	v_lshrrev_b32_e32 v14, v2, v11
	v_or_b32_e32 v13, 0x1000, v4
	v_lshlrev_b32_e32 v16, v2, v14
	v_lshrrev_b32_e32 v15, v10, v13
	v_mov_b32_e32 v2, v7
	v_cmp_ne_u32_e32 vcc_lo, v16, v11
	v_lshlrev_b32_e32 v7, v10, v15
	v_add_nc_u32_e32 v10, 0xfffffc10, v8
	v_cndmask_b32_e64 v11, 0, 1, vcc_lo
	v_cmp_ne_u32_e32 vcc_lo, v7, v13
	v_mad_u64_u32 v[7:8], null, s5, v27, v[2:3]
	v_lshl_or_b32 v2, v10, 12, v12
	v_or_b32_e32 v8, v14, v11
	v_cndmask_b32_e64 v13, 0, 1, vcc_lo
	v_cmp_gt_i32_e32 vcc_lo, 1, v10
	v_lshl_or_b32 v11, v9, 12, v4
	v_lshrrev_b32_e32 v3, 16, v3
	v_or_b32_e32 v13, v15, v13
	v_cndmask_b32_e32 v2, v2, v8, vcc_lo
	v_cmp_gt_i32_e32 vcc_lo, 1, v9
	v_cndmask_b32_e32 v8, v11, v13, vcc_lo
	v_cmp_ne_u32_e32 vcc_lo, 0, v12
	v_and_b32_e32 v12, 7, v2
	v_lshrrev_b32_e32 v2, 2, v2
	v_and_b32_e32 v13, 7, v8
	v_cndmask_b32_e64 v11, 0, 1, vcc_lo
	v_cmp_ne_u32_e32 vcc_lo, 0, v4
	v_cmp_eq_u32_e64 s0, 3, v12
	v_lshrrev_b32_e32 v8, 2, v8
	v_cmp_lt_i32_e64 s1, 5, v13
	v_cmp_eq_u32_e64 s2, 3, v13
	v_cndmask_b32_e64 v4, 0, 1, vcc_lo
	v_cmp_lt_i32_e32 vcc_lo, 5, v12
	v_lshl_or_b32 v11, v11, 9, 0x7c00
	v_lshl_or_b32 v4, v4, 9, 0x7c00
	s_or_b32 vcc_lo, s0, vcc_lo
	v_add_co_ci_u32_e32 v2, vcc_lo, 0, v2, vcc_lo
	s_or_b32 vcc_lo, s2, s1
	v_add_co_ci_u32_e32 v8, vcc_lo, 0, v8, vcc_lo
	v_cmp_gt_i32_e32 vcc_lo, 31, v10
	v_cndmask_b32_e32 v2, 0x7c00, v2, vcc_lo
	v_cmp_gt_i32_e32 vcc_lo, 31, v9
	v_cndmask_b32_e32 v8, 0x7c00, v8, vcc_lo
	v_cmp_eq_u32_e32 vcc_lo, 0x40f, v10
	v_cndmask_b32_e32 v2, v2, v11, vcc_lo
	v_cmp_eq_u32_e32 vcc_lo, 0x40f, v9
	v_and_or_b32 v2, 0x8000, v3, v2
	v_cndmask_b32_e32 v4, v8, v4, vcc_lo
	v_and_or_b32 v4, 0x8000, v5, v4
	v_and_b32_e32 v5, 0xffff, v2
	v_lshlrev_b64 v[2:3], 2, v[6:7]
	v_lshl_or_b32 v4, v4, 16, v5
	v_add_co_u32 v0, vcc_lo, v0, v2
	v_add_co_ci_u32_e32 v1, vcc_lo, v1, v3, vcc_lo
	global_store_dword v[0:1], v4, off
.LBB0_23:
	s_endpgm
	.section	.rodata,"a",@progbits
	.p2align	6, 0x0
	.amdhsa_kernel bluestein_single_back_len374_dim1_half_op_CI_CI
		.amdhsa_group_segment_fixed_size 10472
		.amdhsa_private_segment_fixed_size 0
		.amdhsa_kernarg_size 104
		.amdhsa_user_sgpr_count 6
		.amdhsa_user_sgpr_private_segment_buffer 1
		.amdhsa_user_sgpr_dispatch_ptr 0
		.amdhsa_user_sgpr_queue_ptr 0
		.amdhsa_user_sgpr_kernarg_segment_ptr 1
		.amdhsa_user_sgpr_dispatch_id 0
		.amdhsa_user_sgpr_flat_scratch_init 0
		.amdhsa_user_sgpr_private_segment_size 0
		.amdhsa_wavefront_size32 1
		.amdhsa_uses_dynamic_stack 0
		.amdhsa_system_sgpr_private_segment_wavefront_offset 0
		.amdhsa_system_sgpr_workgroup_id_x 1
		.amdhsa_system_sgpr_workgroup_id_y 0
		.amdhsa_system_sgpr_workgroup_id_z 0
		.amdhsa_system_sgpr_workgroup_info 0
		.amdhsa_system_vgpr_workitem_id 0
		.amdhsa_next_free_vgpr 191
		.amdhsa_next_free_sgpr 16
		.amdhsa_reserve_vcc 1
		.amdhsa_reserve_flat_scratch 0
		.amdhsa_float_round_mode_32 0
		.amdhsa_float_round_mode_16_64 0
		.amdhsa_float_denorm_mode_32 3
		.amdhsa_float_denorm_mode_16_64 3
		.amdhsa_dx10_clamp 1
		.amdhsa_ieee_mode 1
		.amdhsa_fp16_overflow 0
		.amdhsa_workgroup_processor_mode 1
		.amdhsa_memory_ordered 1
		.amdhsa_forward_progress 0
		.amdhsa_shared_vgpr_count 0
		.amdhsa_exception_fp_ieee_invalid_op 0
		.amdhsa_exception_fp_denorm_src 0
		.amdhsa_exception_fp_ieee_div_zero 0
		.amdhsa_exception_fp_ieee_overflow 0
		.amdhsa_exception_fp_ieee_underflow 0
		.amdhsa_exception_fp_ieee_inexact 0
		.amdhsa_exception_int_div_zero 0
	.end_amdhsa_kernel
	.text
.Lfunc_end0:
	.size	bluestein_single_back_len374_dim1_half_op_CI_CI, .Lfunc_end0-bluestein_single_back_len374_dim1_half_op_CI_CI
                                        ; -- End function
	.section	.AMDGPU.csdata,"",@progbits
; Kernel info:
; codeLenInByte = 30272
; NumSgprs: 18
; NumVgprs: 191
; ScratchSize: 0
; MemoryBound: 0
; FloatMode: 240
; IeeeMode: 1
; LDSByteSize: 10472 bytes/workgroup (compile time only)
; SGPRBlocks: 2
; VGPRBlocks: 23
; NumSGPRsForWavesPerEU: 18
; NumVGPRsForWavesPerEU: 191
; Occupancy: 5
; WaveLimiterHint : 1
; COMPUTE_PGM_RSRC2:SCRATCH_EN: 0
; COMPUTE_PGM_RSRC2:USER_SGPR: 6
; COMPUTE_PGM_RSRC2:TRAP_HANDLER: 0
; COMPUTE_PGM_RSRC2:TGID_X_EN: 1
; COMPUTE_PGM_RSRC2:TGID_Y_EN: 0
; COMPUTE_PGM_RSRC2:TGID_Z_EN: 0
; COMPUTE_PGM_RSRC2:TIDIG_COMP_CNT: 0
	.text
	.p2alignl 6, 3214868480
	.fill 48, 4, 3214868480
	.type	__hip_cuid_6230af646b6311af,@object ; @__hip_cuid_6230af646b6311af
	.section	.bss,"aw",@nobits
	.globl	__hip_cuid_6230af646b6311af
__hip_cuid_6230af646b6311af:
	.byte	0                               ; 0x0
	.size	__hip_cuid_6230af646b6311af, 1

	.ident	"AMD clang version 19.0.0git (https://github.com/RadeonOpenCompute/llvm-project roc-6.4.0 25133 c7fe45cf4b819c5991fe208aaa96edf142730f1d)"
	.section	".note.GNU-stack","",@progbits
	.addrsig
	.addrsig_sym __hip_cuid_6230af646b6311af
	.amdgpu_metadata
---
amdhsa.kernels:
  - .args:
      - .actual_access:  read_only
        .address_space:  global
        .offset:         0
        .size:           8
        .value_kind:     global_buffer
      - .actual_access:  read_only
        .address_space:  global
        .offset:         8
        .size:           8
        .value_kind:     global_buffer
      - .actual_access:  read_only
        .address_space:  global
        .offset:         16
        .size:           8
        .value_kind:     global_buffer
      - .actual_access:  read_only
        .address_space:  global
        .offset:         24
        .size:           8
        .value_kind:     global_buffer
      - .actual_access:  read_only
        .address_space:  global
        .offset:         32
        .size:           8
        .value_kind:     global_buffer
      - .offset:         40
        .size:           8
        .value_kind:     by_value
      - .address_space:  global
        .offset:         48
        .size:           8
        .value_kind:     global_buffer
      - .address_space:  global
        .offset:         56
        .size:           8
        .value_kind:     global_buffer
      - .address_space:  global
        .offset:         64
        .size:           8
        .value_kind:     global_buffer
      - .address_space:  global
        .offset:         72
        .size:           8
        .value_kind:     global_buffer
      - .offset:         80
        .size:           4
        .value_kind:     by_value
      - .address_space:  global
        .offset:         88
        .size:           8
        .value_kind:     global_buffer
      - .address_space:  global
        .offset:         96
        .size:           8
        .value_kind:     global_buffer
    .group_segment_fixed_size: 10472
    .kernarg_segment_align: 8
    .kernarg_segment_size: 104
    .language:       OpenCL C
    .language_version:
      - 2
      - 0
    .max_flat_workgroup_size: 238
    .name:           bluestein_single_back_len374_dim1_half_op_CI_CI
    .private_segment_fixed_size: 0
    .sgpr_count:     18
    .sgpr_spill_count: 0
    .symbol:         bluestein_single_back_len374_dim1_half_op_CI_CI.kd
    .uniform_work_group_size: 1
    .uses_dynamic_stack: false
    .vgpr_count:     191
    .vgpr_spill_count: 0
    .wavefront_size: 32
    .workgroup_processor_mode: 1
amdhsa.target:   amdgcn-amd-amdhsa--gfx1030
amdhsa.version:
  - 1
  - 2
...

	.end_amdgpu_metadata
